;; amdgpu-corpus repo=ROCm/rocFFT kind=compiled arch=gfx906 opt=O3
	.text
	.amdgcn_target "amdgcn-amd-amdhsa--gfx906"
	.amdhsa_code_object_version 6
	.protected	bluestein_single_back_len1210_dim1_dp_op_CI_CI ; -- Begin function bluestein_single_back_len1210_dim1_dp_op_CI_CI
	.globl	bluestein_single_back_len1210_dim1_dp_op_CI_CI
	.p2align	8
	.type	bluestein_single_back_len1210_dim1_dp_op_CI_CI,@function
bluestein_single_back_len1210_dim1_dp_op_CI_CI: ; @bluestein_single_back_len1210_dim1_dp_op_CI_CI
; %bb.0:
	s_load_dwordx4 s[12:15], s[4:5], 0x28
	v_mul_u32_u24_e32 v1, 0x254, v0
	v_add_u32_sdwa v196, s6, v1 dst_sel:DWORD dst_unused:UNUSED_PAD src0_sel:DWORD src1_sel:WORD_1
	v_mov_b32_e32 v197, 0
	s_waitcnt lgkmcnt(0)
	v_cmp_gt_u64_e32 vcc, s[12:13], v[196:197]
	s_and_saveexec_b64 s[0:1], vcc
	s_cbranch_execz .LBB0_23
; %bb.1:
	s_load_dwordx4 s[0:3], s[4:5], 0x18
	s_load_dwordx2 s[16:17], s[4:5], 0x0
	s_waitcnt lgkmcnt(0)
	s_load_dwordx4 s[8:11], s[0:1], 0x0
	s_movk_i32 s0, 0x6e
	v_mul_lo_u16_sdwa v1, v1, s0 dst_sel:DWORD dst_unused:UNUSED_PAD src0_sel:WORD_1 src1_sel:DWORD
	v_sub_u16_e32 v200, v0, v1
	v_lshlrev_b32_e32 v197, 4, v200
	s_waitcnt lgkmcnt(0)
	v_mad_u64_u32 v[0:1], s[0:1], s10, v196, 0
	v_mad_u64_u32 v[2:3], s[0:1], s8, v200, 0
	v_add_co_u32_e64 v198, s[6:7], s16, v197
	v_mad_u64_u32 v[4:5], s[0:1], s11, v196, v[1:2]
	v_mad_u64_u32 v[5:6], s[0:1], s9, v200, v[3:4]
	v_mov_b32_e32 v1, v4
	v_lshlrev_b64 v[0:1], 4, v[0:1]
	v_mov_b32_e32 v6, s15
	v_mov_b32_e32 v3, v5
	v_add_co_u32_e32 v4, vcc, s14, v0
	v_addc_co_u32_e32 v5, vcc, v6, v1, vcc
	v_lshlrev_b64 v[0:1], 4, v[2:3]
	s_mul_i32 s0, s9, 0x25d
	s_mul_hi_u32 s1, s8, 0x25d
	v_add_co_u32_e32 v0, vcc, v4, v0
	v_mov_b32_e32 v2, s17
	s_add_i32 s1, s1, s0
	s_mul_i32 s0, s8, 0x25d
	v_addc_co_u32_e32 v1, vcc, v5, v1, vcc
	v_addc_co_u32_e64 v199, vcc, 0, v2, s[6:7]
	s_lshl_b64 s[14:15], s[0:1], 4
	v_mov_b32_e32 v40, s15
	v_add_co_u32_e32 v2, vcc, s14, v0
	v_addc_co_u32_e32 v3, vcc, v1, v40, vcc
	s_movk_i32 s0, 0x2000
	s_mul_hi_u32 s1, s8, 0xfffffe11
	v_add_co_u32_e32 v8, vcc, s0, v198
	s_mul_i32 s0, s9, 0xfffffe11
	s_sub_i32 s1, s1, s8
	s_add_i32 s1, s1, s0
	s_mul_i32 s0, s8, 0xfffffe11
	v_addc_co_u32_e32 v9, vcc, 0, v199, vcc
	s_lshl_b64 s[18:19], s[0:1], 4
	v_mov_b32_e32 v27, s19
	v_add_co_u32_e32 v10, vcc, s18, v2
	v_addc_co_u32_e32 v11, vcc, v3, v27, vcc
	global_load_dwordx4 v[44:47], v[0:1], off
	global_load_dwordx4 v[48:51], v[2:3], off
	global_load_dwordx4 v[36:39], v197, s[16:17]
	s_nop 0
	global_load_dwordx4 v[0:3], v197, s[16:17] offset:1760
	v_add_co_u32_e32 v16, vcc, s14, v10
	v_addc_co_u32_e32 v17, vcc, v11, v40, vcc
	global_load_dwordx4 v[52:55], v[10:11], off
	global_load_dwordx4 v[56:59], v[16:17], off
	global_load_dwordx4 v[12:15], v[8:9], off offset:1488
	global_load_dwordx4 v[4:7], v[8:9], off offset:3248
	v_add_co_u32_e32 v16, vcc, s18, v16
	v_addc_co_u32_e32 v17, vcc, v17, v27, vcc
	global_load_dwordx4 v[60:63], v[16:17], off
	global_load_dwordx4 v[8:11], v197, s[16:17] offset:3520
	v_add_co_u32_e32 v16, vcc, s14, v16
	v_addc_co_u32_e32 v17, vcc, v17, v40, vcc
	s_movk_i32 s0, 0x3000
	v_add_co_u32_e32 v20, vcc, s0, v198
	v_addc_co_u32_e32 v21, vcc, 0, v199, vcc
	global_load_dwordx4 v[64:67], v[16:17], off
	v_add_co_u32_e32 v16, vcc, s18, v16
	v_addc_co_u32_e32 v17, vcc, v17, v27, vcc
	s_movk_i32 s0, 0x1000
	v_add_co_u32_e32 v24, vcc, s0, v198
	v_addc_co_u32_e32 v25, vcc, 0, v199, vcc
	v_add_co_u32_e32 v22, vcc, s14, v16
	v_addc_co_u32_e32 v23, vcc, v17, v40, vcc
	global_load_dwordx4 v[68:71], v[16:17], off
	global_load_dwordx4 v[72:75], v[22:23], off
	global_load_dwordx4 v[28:31], v[20:21], off offset:912
	s_nop 0
	global_load_dwordx4 v[16:19], v[20:21], off offset:2672
	v_add_co_u32_e32 v26, vcc, s18, v22
	v_addc_co_u32_e32 v27, vcc, v23, v27, vcc
	v_add_co_u32_e32 v42, vcc, s14, v26
	v_addc_co_u32_e32 v43, vcc, v27, v40, vcc
	s_movk_i32 s0, 0x4000
	global_load_dwordx4 v[76:79], v[26:27], off
	global_load_dwordx4 v[32:35], v[24:25], off offset:1184
	global_load_dwordx4 v[20:23], v[24:25], off offset:2944
	v_add_co_u32_e32 v40, vcc, s0, v198
	v_addc_co_u32_e32 v41, vcc, 0, v199, vcc
	global_load_dwordx4 v[80:83], v[42:43], off
	global_load_dwordx4 v[24:27], v[40:41], off offset:336
	s_load_dwordx2 s[12:13], s[4:5], 0x38
	s_load_dwordx4 s[8:11], s[2:3], 0x0
	v_cmp_gt_u16_e64 s[0:1], 55, v200
	s_waitcnt vmcnt(17)
	v_mul_f64 v[84:85], v[46:47], v[38:39]
	v_mul_f64 v[86:87], v[44:45], v[38:39]
	s_waitcnt vmcnt(13)
	v_mul_f64 v[88:89], v[50:51], v[14:15]
	v_mul_f64 v[90:91], v[48:49], v[14:15]
	v_fma_f64 v[44:45], v[44:45], v[36:37], v[84:85]
	v_fma_f64 v[46:47], v[46:47], v[36:37], -v[86:87]
	s_waitcnt vmcnt(10)
	v_mul_f64 v[84:85], v[62:63], v[10:11]
	v_mul_f64 v[86:87], v[60:61], v[10:11]
	v_fma_f64 v[48:49], v[48:49], v[12:13], v[88:89]
	v_fma_f64 v[50:51], v[50:51], v[12:13], -v[90:91]
	ds_write_b128 v197, v[44:47]
	ds_write_b128 v197, v[48:51] offset:9680
	v_mul_f64 v[44:45], v[54:55], v[2:3]
	v_mul_f64 v[46:47], v[52:53], v[2:3]
	;; [unrolled: 1-line block ×4, first 2 shown]
	v_fma_f64 v[44:45], v[52:53], v[0:1], v[44:45]
	v_fma_f64 v[46:47], v[54:55], v[0:1], -v[46:47]
	v_fma_f64 v[52:53], v[60:61], v[8:9], v[84:85]
	v_fma_f64 v[54:55], v[62:63], v[8:9], -v[86:87]
	v_fma_f64 v[48:49], v[56:57], v[4:5], v[48:49]
	s_waitcnt vmcnt(6)
	v_mul_f64 v[88:89], v[66:67], v[30:31]
	v_mul_f64 v[90:91], v[64:65], v[30:31]
	v_fma_f64 v[50:51], v[58:59], v[4:5], -v[50:51]
	v_fma_f64 v[56:57], v[64:65], v[28:29], v[88:89]
	v_fma_f64 v[58:59], v[66:67], v[28:29], -v[90:91]
	s_waitcnt vmcnt(3)
	v_mul_f64 v[60:61], v[70:71], v[34:35]
	v_mul_f64 v[62:63], v[68:69], v[34:35]
	;; [unrolled: 1-line block ×4, first 2 shown]
	s_waitcnt vmcnt(2)
	v_mul_f64 v[84:85], v[78:79], v[22:23]
	v_mul_f64 v[86:87], v[76:77], v[22:23]
	s_waitcnt vmcnt(0)
	v_mul_f64 v[88:89], v[82:83], v[26:27]
	v_mul_f64 v[90:91], v[80:81], v[26:27]
	v_fma_f64 v[60:61], v[68:69], v[32:33], v[60:61]
	v_fma_f64 v[62:63], v[70:71], v[32:33], -v[62:63]
	v_fma_f64 v[64:65], v[72:73], v[16:17], v[64:65]
	v_fma_f64 v[66:67], v[74:75], v[16:17], -v[66:67]
	;; [unrolled: 2-line block ×4, first 2 shown]
	ds_write_b128 v197, v[44:47] offset:1760
	ds_write_b128 v197, v[48:51] offset:11440
	;; [unrolled: 1-line block ×8, first 2 shown]
	s_and_saveexec_b64 s[2:3], s[0:1]
	s_cbranch_execz .LBB0_3
; %bb.2:
	v_mov_b32_e32 v44, s19
	v_add_co_u32_e32 v50, vcc, s18, v42
	v_addc_co_u32_e32 v51, vcc, v43, v44, vcc
	v_add_co_u32_e32 v46, vcc, 0x2000, v198
	v_addc_co_u32_e32 v47, vcc, 0, v199, vcc
	global_load_dwordx4 v[42:45], v[50:51], off
	v_mov_b32_e32 v52, s15
	global_load_dwordx4 v[46:49], v[46:47], off offset:608
	v_add_co_u32_e32 v58, vcc, s14, v50
	v_addc_co_u32_e32 v59, vcc, v51, v52, vcc
	global_load_dwordx4 v[50:53], v[40:41], off offset:2096
	global_load_dwordx4 v[54:57], v[58:59], off
	s_waitcnt vmcnt(2)
	v_mul_f64 v[40:41], v[44:45], v[48:49]
	v_mul_f64 v[48:49], v[42:43], v[48:49]
	s_waitcnt vmcnt(0)
	v_mul_f64 v[58:59], v[56:57], v[52:53]
	v_mul_f64 v[52:53], v[54:55], v[52:53]
	v_fma_f64 v[40:41], v[42:43], v[46:47], v[40:41]
	v_fma_f64 v[42:43], v[44:45], v[46:47], -v[48:49]
	v_fma_f64 v[44:45], v[54:55], v[50:51], v[58:59]
	v_fma_f64 v[46:47], v[56:57], v[50:51], -v[52:53]
	ds_write_b128 v197, v[40:43] offset:8800
	ds_write_b128 v197, v[44:47] offset:18480
.LBB0_3:
	s_or_b64 exec, exec, s[2:3]
	s_waitcnt lgkmcnt(0)
	s_barrier
	ds_read_b128 v[76:79], v197
	ds_read_b128 v[72:75], v197 offset:1760
	ds_read_b128 v[80:83], v197 offset:11440
	;; [unrolled: 1-line block ×9, first 2 shown]
                                        ; implicit-def: $vgpr52_vgpr53
                                        ; implicit-def: $vgpr60_vgpr61
	s_and_saveexec_b64 s[2:3], s[0:1]
	s_cbranch_execz .LBB0_5
; %bb.4:
	ds_read_b128 v[52:55], v197 offset:8800
	ds_read_b128 v[60:63], v197 offset:18480
.LBB0_5:
	s_or_b64 exec, exec, s[2:3]
	s_waitcnt lgkmcnt(3)
	v_add_f64 v[84:85], v[76:77], -v[84:85]
	v_add_f64 v[86:87], v[78:79], -v[86:87]
	v_add_f64 v[80:81], v[72:73], -v[80:81]
	v_add_f64 v[82:83], v[74:75], -v[82:83]
	v_add_f64 v[88:89], v[44:45], -v[68:69]
	v_add_f64 v[90:91], v[46:47], -v[70:71]
	s_waitcnt lgkmcnt(0)
	v_add_f64 v[68:69], v[52:53], -v[60:61]
	v_add_f64 v[70:71], v[54:55], -v[62:63]
	;; [unrolled: 1-line block ×6, first 2 shown]
	v_fma_f64 v[76:77], v[76:77], 2.0, -v[84:85]
	v_fma_f64 v[78:79], v[78:79], 2.0, -v[86:87]
	;; [unrolled: 1-line block ×10, first 2 shown]
	s_load_dwordx2 s[4:5], s[4:5], 0x8
	s_movk_i32 s2, 0x6e
	v_add_co_u32_e32 v117, vcc, s2, v200
	s_movk_i32 s2, 0xdc
	v_fma_f64 v[48:49], v[48:49], 2.0, -v[92:93]
	v_fma_f64 v[50:51], v[50:51], 2.0, -v[94:95]
	v_add_co_u32_e32 v116, vcc, s2, v200
	s_movk_i32 s2, 0x226
	v_add_co_u32_e32 v96, vcc, s2, v200
	v_lshlrev_b16_e32 v52, 1, v200
	v_lshlrev_b32_e32 v207, 5, v200
	v_lshlrev_b32_e32 v203, 4, v52
	;; [unrolled: 1-line block ×5, first 2 shown]
	s_waitcnt lgkmcnt(0)
	s_barrier
	ds_write_b128 v203, v[76:79]
	ds_write_b128 v203, v[84:87] offset:16
	ds_write_b128 v204, v[72:75]
	ds_write_b128 v204, v[80:83] offset:16
	;; [unrolled: 2-line block ×3, first 2 shown]
	ds_write_b128 v207, v[40:43] offset:10560
	ds_write_b128 v207, v[64:67] offset:10576
	;; [unrolled: 1-line block ×4, first 2 shown]
	s_and_saveexec_b64 s[2:3], s[0:1]
	s_cbranch_execz .LBB0_7
; %bb.6:
	ds_write_b128 v202, v[56:59]
	ds_write_b128 v202, v[68:71] offset:16
.LBB0_7:
	s_or_b64 exec, exec, s[2:3]
	s_waitcnt lgkmcnt(0)
	s_barrier
	ds_read_b128 v[64:67], v197
	ds_read_b128 v[60:63], v197 offset:1760
	ds_read_b128 v[88:91], v197 offset:3872
	ds_read_b128 v[72:75], v197 offset:5632
	ds_read_b128 v[92:95], v197 offset:7744
	ds_read_b128 v[76:79], v197 offset:9504
	ds_read_b128 v[96:99], v197 offset:11616
	ds_read_b128 v[80:83], v197 offset:13376
	ds_read_b128 v[100:103], v197 offset:15488
	ds_read_b128 v[84:87], v197 offset:17248
	v_cmp_gt_u16_e64 s[2:3], 22, v200
                                        ; implicit-def: $vgpr104_vgpr105
                                        ; implicit-def: $vgpr108_vgpr109
                                        ; implicit-def: $vgpr112_vgpr113
	s_and_saveexec_b64 s[14:15], s[2:3]
	s_cbranch_execz .LBB0_9
; %bb.8:
	ds_read_b128 v[56:59], v197 offset:3520
	ds_read_b128 v[68:71], v197 offset:7392
	ds_read_b128 v[104:107], v197 offset:11264
	ds_read_b128 v[108:111], v197 offset:15136
	ds_read_b128 v[112:115], v197 offset:19008
.LBB0_9:
	s_or_b64 exec, exec, s[14:15]
	v_and_b32_e32 v201, 1, v200
	v_lshlrev_b32_e32 v44, 6, v201
	global_load_dwordx4 v[40:43], v44, s[4:5]
	global_load_dwordx4 v[52:55], v44, s[4:5] offset:16
	global_load_dwordx4 v[48:51], v44, s[4:5] offset:32
	s_nop 0
	global_load_dwordx4 v[44:47], v44, s[4:5] offset:48
	s_mov_b32 s20, 0x134454ff
	s_mov_b32 s21, 0x3fee6f0e
	;; [unrolled: 1-line block ×10, first 2 shown]
	s_waitcnt vmcnt(0) lgkmcnt(0)
	s_barrier
	v_lshrrev_b32_e32 v206, 1, v116
	v_mul_f64 v[118:119], v[90:91], v[42:43]
	v_mul_f64 v[120:121], v[88:89], v[42:43]
	;; [unrolled: 1-line block ×15, first 2 shown]
	v_fma_f64 v[88:89], v[88:89], v[40:41], -v[118:119]
	v_fma_f64 v[90:91], v[90:91], v[40:41], v[120:121]
	v_fma_f64 v[118:119], v[92:93], v[52:53], -v[122:123]
	v_fma_f64 v[120:121], v[94:95], v[52:53], v[124:125]
	;; [unrolled: 2-line block ×4, first 2 shown]
	v_mul_f64 v[134:135], v[74:75], v[42:43]
	v_mul_f64 v[140:141], v[76:77], v[54:55]
	;; [unrolled: 1-line block ×9, first 2 shown]
	v_fma_f64 v[124:125], v[74:75], v[40:41], v[136:137]
	v_fma_f64 v[76:77], v[76:77], v[52:53], -v[138:139]
	v_fma_f64 v[126:127], v[80:81], v[48:49], -v[142:143]
	;; [unrolled: 1-line block ×3, first 2 shown]
	v_fma_f64 v[94:95], v[70:71], v[40:41], v[152:153]
	v_fma_f64 v[70:71], v[104:105], v[52:53], -v[154:155]
	v_fma_f64 v[80:81], v[106:107], v[52:53], v[156:157]
	v_add_f64 v[104:105], v[64:65], v[88:89]
	v_add_f64 v[106:107], v[118:119], v[96:97]
	;; [unrolled: 1-line block ×6, first 2 shown]
	v_fma_f64 v[122:123], v[72:73], v[40:41], -v[134:135]
	v_fma_f64 v[78:79], v[78:79], v[52:53], v[140:141]
	v_fma_f64 v[128:129], v[82:83], v[48:49], v[144:145]
	;; [unrolled: 1-line block ×3, first 2 shown]
	v_fma_f64 v[72:73], v[108:109], v[48:49], -v[158:159]
	v_fma_f64 v[82:83], v[110:111], v[48:49], v[160:161]
	v_fma_f64 v[74:75], v[112:113], v[44:45], -v[162:163]
	v_fma_f64 v[92:93], v[114:115], v[44:45], v[164:165]
	v_add_f64 v[108:109], v[90:91], -v[102:103]
	v_add_f64 v[110:111], v[120:121], -v[98:99]
	;; [unrolled: 1-line block ×10, first 2 shown]
	v_add_f64 v[152:153], v[76:77], v[126:127]
	v_add_f64 v[104:105], v[104:105], v[118:119]
	;; [unrolled: 1-line block ×3, first 2 shown]
	v_fma_f64 v[106:107], v[106:107], -0.5, v[64:65]
	v_fma_f64 v[64:65], v[130:131], -0.5, v[64:65]
	;; [unrolled: 1-line block ×4, first 2 shown]
	v_fma_f64 v[68:69], v[68:69], v[40:41], -v[150:151]
	v_add_f64 v[90:91], v[120:121], -v[90:91]
	v_add_f64 v[148:149], v[98:99], -v[102:103]
	v_add_f64 v[150:151], v[60:61], v[122:123]
	v_add_f64 v[154:155], v[124:125], -v[86:87]
	v_add_f64 v[112:113], v[112:113], v[114:115]
	v_add_f64 v[114:115], v[132:133], v[134:135]
	;; [unrolled: 1-line block ×3, first 2 shown]
	v_fma_f64 v[134:135], v[152:153], -0.5, v[60:61]
	v_add_f64 v[96:97], v[104:105], v[96:97]
	v_fma_f64 v[104:105], v[108:109], s[20:21], v[106:107]
	v_fma_f64 v[106:107], v[108:109], s[24:25], v[106:107]
	;; [unrolled: 1-line block ×4, first 2 shown]
	v_add_f64 v[98:99], v[118:119], v[98:99]
	v_fma_f64 v[118:119], v[88:89], s[24:25], v[130:131]
	v_fma_f64 v[130:131], v[88:89], s[20:21], v[130:131]
	;; [unrolled: 1-line block ×4, first 2 shown]
	v_add_f64 v[156:157], v[78:79], -v[128:129]
	v_add_f64 v[158:159], v[122:123], -v[76:77]
	;; [unrolled: 1-line block ×3, first 2 shown]
	v_add_f64 v[162:163], v[122:123], v[84:85]
	v_add_f64 v[90:91], v[90:91], v[148:149]
	;; [unrolled: 1-line block ×3, first 2 shown]
	v_fma_f64 v[146:147], v[154:155], s[20:21], v[134:135]
	v_fma_f64 v[134:135], v[154:155], s[24:25], v[134:135]
	v_add_f64 v[64:65], v[96:97], v[100:101]
	v_fma_f64 v[96:97], v[110:111], s[14:15], v[104:105]
	v_fma_f64 v[100:101], v[110:111], s[22:23], v[106:107]
	v_fma_f64 v[104:105], v[108:109], s[14:15], v[136:137]
	v_fma_f64 v[106:107], v[108:109], s[22:23], v[138:139]
	v_add_f64 v[66:67], v[98:99], v[102:103]
	v_fma_f64 v[98:99], v[140:141], s[22:23], v[118:119]
	v_fma_f64 v[102:103], v[140:141], s[14:15], v[130:131]
	;; [unrolled: 5-line block ×3, first 2 shown]
	v_fma_f64 v[104:105], v[114:115], s[18:19], v[104:105]
	v_fma_f64 v[112:113], v[114:115], s[18:19], v[106:107]
	;; [unrolled: 1-line block ×5, first 2 shown]
	v_fma_f64 v[108:109], v[162:163], -0.5, v[60:61]
	v_fma_f64 v[114:115], v[90:91], s[18:19], v[88:89]
	v_add_f64 v[90:91], v[62:63], v[124:125]
	v_add_f64 v[110:111], v[78:79], v[128:129]
	;; [unrolled: 1-line block ×3, first 2 shown]
	v_fma_f64 v[130:131], v[156:157], s[22:23], v[134:135]
	v_add_f64 v[60:61], v[132:133], v[84:85]
	v_fma_f64 v[88:89], v[156:157], s[14:15], v[146:147]
	v_fma_f64 v[132:133], v[156:157], s[24:25], v[108:109]
	v_add_f64 v[134:135], v[76:77], -v[122:123]
	v_add_f64 v[136:137], v[126:127], -v[84:85]
	v_add_f64 v[90:91], v[90:91], v[78:79]
	v_fma_f64 v[110:111], v[110:111], -0.5, v[62:63]
	v_add_f64 v[84:85], v[122:123], -v[84:85]
	v_fma_f64 v[122:123], v[120:121], s[18:19], v[130:131]
	v_add_f64 v[130:131], v[124:125], v[86:87]
	v_fma_f64 v[108:109], v[156:157], s[20:21], v[108:109]
	v_fma_f64 v[118:119], v[120:121], s[18:19], v[88:89]
	;; [unrolled: 1-line block ×3, first 2 shown]
	v_add_f64 v[120:121], v[134:135], v[136:137]
	v_add_f64 v[90:91], v[90:91], v[128:129]
	v_fma_f64 v[132:133], v[84:85], s[24:25], v[110:111]
	v_add_f64 v[76:77], v[76:77], -v[126:127]
	v_fma_f64 v[110:111], v[84:85], s[20:21], v[110:111]
	v_fma_f64 v[138:139], v[130:131], -0.5, v[62:63]
	v_fma_f64 v[108:109], v[154:155], s[22:23], v[108:109]
	v_add_f64 v[134:135], v[124:125], -v[78:79]
	v_add_f64 v[136:137], v[86:87], -v[128:129]
	v_fma_f64 v[126:127], v[120:121], s[18:19], v[88:89]
	v_add_f64 v[62:63], v[90:91], v[86:87]
	v_fma_f64 v[88:89], v[76:77], s[22:23], v[132:133]
	v_add_f64 v[90:91], v[70:71], v[72:73]
	v_fma_f64 v[110:111], v[76:77], s[14:15], v[110:111]
	v_fma_f64 v[132:133], v[76:77], s[20:21], v[138:139]
	v_add_f64 v[78:79], v[78:79], -v[124:125]
	v_add_f64 v[86:87], v[128:129], -v[86:87]
	v_fma_f64 v[76:77], v[76:77], s[24:25], v[138:139]
	v_fma_f64 v[130:131], v[120:121], s[18:19], v[108:109]
	v_add_f64 v[108:109], v[134:135], v[136:137]
	v_fma_f64 v[90:91], v[90:91], -0.5, v[56:57]
	v_add_f64 v[134:135], v[94:95], -v[92:93]
	v_add_f64 v[128:129], v[68:69], v[74:75]
	v_add_f64 v[136:137], v[74:75], -v[72:73]
	v_add_f64 v[78:79], v[78:79], v[86:87]
	v_fma_f64 v[76:77], v[84:85], s[14:15], v[76:77]
	v_add_f64 v[86:87], v[80:81], -v[82:83]
	v_fma_f64 v[120:121], v[108:109], s[18:19], v[88:89]
	v_fma_f64 v[124:125], v[108:109], s[18:19], v[110:111]
	v_fma_f64 v[88:89], v[84:85], s[22:23], v[132:133]
	v_fma_f64 v[84:85], v[134:135], s[20:21], v[90:91]
	v_add_f64 v[110:111], v[68:69], -v[70:71]
	v_add_f64 v[138:139], v[80:81], v[82:83]
	v_fma_f64 v[132:133], v[78:79], s[18:19], v[76:77]
	v_add_f64 v[76:77], v[94:95], v[92:93]
	v_fma_f64 v[108:109], v[128:129], -0.5, v[56:57]
	v_add_f64 v[140:141], v[70:71], -v[68:69]
	v_fma_f64 v[128:129], v[78:79], s[18:19], v[88:89]
	v_fma_f64 v[88:89], v[134:135], s[24:25], v[90:91]
	;; [unrolled: 1-line block ×3, first 2 shown]
	v_add_f64 v[84:85], v[110:111], v[136:137]
	v_fma_f64 v[110:111], v[138:139], -0.5, v[58:59]
	v_add_f64 v[136:137], v[68:69], -v[74:75]
	v_add_f64 v[138:139], v[70:71], -v[72:73]
	v_fma_f64 v[76:77], v[76:77], -0.5, v[58:59]
	v_fma_f64 v[90:91], v[86:87], s[24:25], v[108:109]
	v_fma_f64 v[88:89], v[86:87], s[22:23], v[88:89]
	v_add_f64 v[142:143], v[72:73], -v[74:75]
	v_fma_f64 v[86:87], v[86:87], s[20:21], v[108:109]
	v_add_f64 v[144:145], v[94:95], -v[80:81]
	;; [unrolled: 2-line block ×3, first 2 shown]
	v_fma_f64 v[110:111], v[136:137], s[20:21], v[110:111]
	v_fma_f64 v[148:149], v[138:139], s[20:21], v[76:77]
	v_add_f64 v[150:151], v[80:81], -v[94:95]
	v_add_f64 v[152:153], v[82:83], -v[92:93]
	v_fma_f64 v[76:77], v[138:139], s[24:25], v[76:77]
	v_fma_f64 v[90:91], v[134:135], s[14:15], v[90:91]
	v_add_f64 v[140:141], v[140:141], v[142:143]
	v_fma_f64 v[86:87], v[134:135], s[22:23], v[86:87]
	v_fma_f64 v[134:135], v[138:139], s[22:23], v[108:109]
	v_add_f64 v[142:143], v[144:145], v[146:147]
	;; [unrolled: 3-line block ×3, first 2 shown]
	v_fma_f64 v[136:137], v[136:137], s[14:15], v[76:77]
	v_fma_f64 v[108:109], v[84:85], s[18:19], v[78:79]
	;; [unrolled: 1-line block ×9, first 2 shown]
	v_lshrrev_b32_e32 v134, 1, v200
	v_mul_u32_u24_e32 v134, 10, v134
	v_or_b32_e32 v134, v134, v201
	v_lshlrev_b32_e32 v208, 4, v134
	ds_write_b128 v208, v[64:67]
	ds_write_b128 v208, v[96:99] offset:32
	ds_write_b128 v208, v[104:107] offset:64
	;; [unrolled: 1-line block ×4, first 2 shown]
	v_lshrrev_b32_e32 v64, 1, v117
	v_mul_u32_u24_e32 v64, 10, v64
	v_or_b32_e32 v64, v64, v201
	v_lshlrev_b32_e32 v209, 4, v64
	ds_write_b128 v209, v[60:63]
	ds_write_b128 v209, v[118:121] offset:32
	ds_write_b128 v209, v[126:129] offset:64
	;; [unrolled: 1-line block ×4, first 2 shown]
	s_and_saveexec_b64 s[14:15], s[2:3]
	s_cbranch_execz .LBB0_11
; %bb.10:
	v_add_f64 v[58:59], v[58:59], v[94:95]
	v_add_f64 v[56:57], v[56:57], v[68:69]
	v_mul_u32_u24_e32 v60, 10, v206
	v_or_b32_e32 v60, v60, v201
	v_lshlrev_b32_e32 v60, 4, v60
	v_add_f64 v[58:59], v[58:59], v[80:81]
	v_add_f64 v[56:57], v[56:57], v[70:71]
	;; [unrolled: 1-line block ×6, first 2 shown]
	ds_write_b128 v60, v[108:111] offset:32
	ds_write_b128 v60, v[76:79] offset:64
	;; [unrolled: 1-line block ×3, first 2 shown]
	ds_write_b128 v60, v[56:59]
	ds_write_b128 v60, v[88:91] offset:128
.LBB0_11:
	s_or_b64 exec, exec, s[14:15]
	v_mov_b32_e32 v56, s17
	v_addc_co_u32_e64 v190, vcc, 0, v56, s[6:7]
	s_movk_i32 s6, 0xcd
	v_mul_lo_u16_sdwa v60, v200, s6 dst_sel:DWORD dst_unused:UNUSED_PAD src0_sel:BYTE_0 src1_sel:DWORD
	v_lshrrev_b16_e32 v180, 11, v60
	v_mul_lo_u16_e32 v60, 10, v180
	v_sub_u16_e32 v60, v200, v60
	v_mov_b32_e32 v121, s5
	v_and_b32_e32 v181, 0xff, v60
	s_movk_i32 s33, 0xa0
	v_mov_b32_e32 v120, s4
	v_mad_u64_u32 v[162:163], s[4:5], v181, s33, v[120:121]
	s_waitcnt lgkmcnt(0)
	s_barrier
	ds_read_b128 v[116:119], v197
	ds_read_b128 v[56:59], v197 offset:1760
	ds_read_b128 v[64:67], v197 offset:3520
	;; [unrolled: 1-line block ×10, first 2 shown]
	global_load_dwordx4 v[60:63], v[162:163], off offset:176
	global_load_dwordx4 v[68:71], v[162:163], off offset:160
	;; [unrolled: 1-line block ×4, first 2 shown]
	s_mov_b32 s24, 0xf8bb580b
	s_mov_b32 s25, 0xbfe14ced
	;; [unrolled: 1-line block ×28, first 2 shown]
	s_waitcnt vmcnt(0) lgkmcnt(9)
	v_mul_f64 v[100:101], v[58:59], v[94:95]
	v_fma_f64 v[164:165], v[56:57], v[92:93], -v[100:101]
	v_mul_f64 v[56:57], v[56:57], v[94:95]
	v_fma_f64 v[166:167], v[58:59], v[92:93], v[56:57]
	s_waitcnt lgkmcnt(8)
	v_mul_f64 v[56:57], v[66:67], v[82:83]
	v_fma_f64 v[146:147], v[64:65], v[80:81], -v[56:57]
	v_mul_f64 v[56:57], v[64:65], v[82:83]
	v_fma_f64 v[148:149], v[66:67], v[80:81], v[56:57]
	s_waitcnt lgkmcnt(7)
	;; [unrolled: 5-line block ×3, first 2 shown]
	v_mul_f64 v[56:57], v[98:99], v[62:63]
	v_fma_f64 v[132:133], v[96:97], v[60:61], -v[56:57]
	v_mul_f64 v[56:57], v[96:97], v[62:63]
	v_fma_f64 v[130:131], v[98:99], v[60:61], v[56:57]
	global_load_dwordx4 v[56:59], v[162:163], off offset:240
	global_load_dwordx4 v[64:67], v[162:163], off offset:224
	;; [unrolled: 1-line block ×4, first 2 shown]
	s_waitcnt vmcnt(0) lgkmcnt(5)
	v_mul_f64 v[96:97], v[106:107], v[102:103]
	v_fma_f64 v[126:127], v[104:105], v[100:101], -v[96:97]
	v_mul_f64 v[96:97], v[104:105], v[102:103]
	v_fma_f64 v[122:123], v[106:107], v[100:101], v[96:97]
	s_waitcnt lgkmcnt(4)
	v_mul_f64 v[96:97], v[114:115], v[74:75]
	v_fma_f64 v[128:129], v[112:113], v[72:73], -v[96:97]
	v_mul_f64 v[96:97], v[112:113], v[74:75]
	v_fma_f64 v[124:125], v[114:115], v[72:73], v[96:97]
	s_waitcnt lgkmcnt(3)
	v_mul_f64 v[96:97], v[144:145], v[66:67]
	v_add_f64 v[114:115], v[118:119], v[166:167]
	v_fma_f64 v[136:137], v[142:143], v[64:65], -v[96:97]
	v_mul_f64 v[96:97], v[142:143], v[66:67]
	v_add_f64 v[114:115], v[114:115], v[148:149]
	v_fma_f64 v[134:135], v[144:145], v[64:65], v[96:97]
	s_waitcnt lgkmcnt(2)
	v_mul_f64 v[96:97], v[152:153], v[58:59]
	v_add_f64 v[114:115], v[114:115], v[138:139]
	v_fma_f64 v[144:145], v[150:151], v[56:57], -v[96:97]
	v_mul_f64 v[96:97], v[150:151], v[58:59]
	v_add_f64 v[114:115], v[114:115], v[130:131]
	v_fma_f64 v[142:143], v[152:153], v[56:57], v[96:97]
	global_load_dwordx4 v[96:99], v[162:163], off offset:272
	global_load_dwordx4 v[104:107], v[162:163], off offset:256
	v_add_f64 v[114:115], v[114:115], v[122:123]
	s_waitcnt vmcnt(0) lgkmcnt(0)
	s_barrier
	v_add_f64 v[114:115], v[114:115], v[124:125]
	v_add_f64 v[114:115], v[114:115], v[134:135]
	;; [unrolled: 1-line block ×3, first 2 shown]
	v_mul_f64 v[112:113], v[156:157], v[106:107]
	v_fma_f64 v[174:175], v[154:155], v[104:105], -v[112:113]
	v_mul_f64 v[112:113], v[154:155], v[106:107]
	v_fma_f64 v[178:179], v[156:157], v[104:105], v[112:113]
	v_mul_f64 v[112:113], v[160:161], v[98:99]
	v_add_f64 v[114:115], v[114:115], v[178:179]
	v_fma_f64 v[150:151], v[158:159], v[96:97], -v[112:113]
	v_mul_f64 v[112:113], v[158:159], v[98:99]
	v_add_f64 v[182:183], v[164:165], v[150:151]
	v_fma_f64 v[152:153], v[160:161], v[96:97], v[112:113]
	v_add_f64 v[112:113], v[116:117], v[164:165]
	v_add_f64 v[164:165], v[164:165], -v[150:151]
	v_add_f64 v[162:163], v[166:167], -v[152:153]
	v_add_f64 v[112:113], v[112:113], v[146:147]
	v_add_f64 v[114:115], v[114:115], v[152:153]
	v_add_f64 v[184:185], v[166:167], v[152:153]
	v_mul_f64 v[214:215], v[164:165], s[26:27]
	v_mul_f64 v[212:213], v[162:163], s[26:27]
	v_add_f64 v[112:113], v[112:113], v[140:141]
	v_add_f64 v[112:113], v[112:113], v[132:133]
	;; [unrolled: 1-line block ×8, first 2 shown]
	v_mul_f64 v[150:151], v[162:163], s[24:25]
	v_fma_f64 v[152:153], v[182:183], s[16:17], -v[150:151]
	v_fma_f64 v[150:151], v[182:183], s[16:17], v[150:151]
	v_add_f64 v[186:187], v[116:117], v[152:153]
	v_mul_f64 v[152:153], v[164:165], s[24:25]
	v_add_f64 v[191:192], v[116:117], v[150:151]
	v_fma_f64 v[150:151], v[184:185], s[16:17], -v[152:153]
	v_fma_f64 v[154:155], v[184:185], s[16:17], v[152:153]
	v_add_f64 v[193:194], v[118:119], v[150:151]
	v_mul_f64 v[150:151], v[162:163], s[34:35]
	v_add_f64 v[188:189], v[118:119], v[154:155]
	;; [unrolled: 5-line block ×5, first 2 shown]
	v_fma_f64 v[154:155], v[184:185], s[4:5], v[152:153]
	v_fma_f64 v[150:151], v[184:185], s[4:5], -v[152:153]
	v_mul_f64 v[152:153], v[162:163], s[20:21]
	v_fma_f64 v[162:163], v[182:183], s[22:23], -v[212:213]
	v_add_f64 v[166:167], v[118:119], v[154:155]
	v_add_f64 v[170:171], v[118:119], v[150:151]
	v_fma_f64 v[150:151], v[182:183], s[18:19], -v[152:153]
	v_mul_f64 v[154:155], v[164:165], s[20:21]
	v_fma_f64 v[152:153], v[182:183], s[18:19], v[152:153]
	v_fma_f64 v[182:183], v[182:183], s[22:23], v[212:213]
	v_add_f64 v[162:163], v[116:117], v[162:163]
	v_fma_f64 v[164:165], v[184:185], s[22:23], v[214:215]
	v_add_f64 v[176:177], v[116:117], v[150:151]
	;; [unrolled: 2-line block ×3, first 2 shown]
	v_fma_f64 v[154:155], v[184:185], s[18:19], -v[154:155]
	v_add_f64 v[116:117], v[116:117], v[182:183]
	v_fma_f64 v[182:183], v[184:185], s[22:23], -v[214:215]
	v_add_f64 v[184:185], v[148:149], v[178:179]
	v_add_f64 v[148:149], v[148:149], -v[178:179]
	v_add_f64 v[164:165], v[118:119], v[164:165]
	v_add_f64 v[150:151], v[118:119], v[150:151]
	;; [unrolled: 1-line block ×5, first 2 shown]
	v_add_f64 v[146:147], v[146:147], -v[174:175]
	v_mul_f64 v[174:175], v[148:149], s[34:35]
	v_fma_f64 v[178:179], v[182:183], s[6:7], -v[174:175]
	v_fma_f64 v[174:175], v[182:183], s[6:7], v[174:175]
	v_add_f64 v[178:179], v[178:179], v[186:187]
	v_mul_f64 v[186:187], v[146:147], s[34:35]
	v_add_f64 v[174:175], v[174:175], v[191:192]
	v_mul_f64 v[191:192], v[148:149], s[20:21]
	v_fma_f64 v[212:213], v[184:185], s[6:7], v[186:187]
	v_fma_f64 v[186:187], v[184:185], s[6:7], -v[186:187]
	v_add_f64 v[188:189], v[212:213], v[188:189]
	v_add_f64 v[186:187], v[186:187], v[193:194]
	v_fma_f64 v[193:194], v[182:183], s[18:19], -v[191:192]
	v_fma_f64 v[191:192], v[182:183], s[18:19], v[191:192]
	v_add_f64 v[193:194], v[193:194], v[210:211]
	v_mul_f64 v[210:211], v[146:147], s[20:21]
	v_add_f64 v[158:159], v[191:192], v[158:159]
	v_fma_f64 v[191:192], v[184:185], s[18:19], -v[210:211]
	v_fma_f64 v[212:213], v[184:185], s[18:19], v[210:211]
	v_add_f64 v[160:161], v[191:192], v[160:161]
	v_mul_f64 v[191:192], v[148:149], s[38:39]
	;; [unrolled: 5-line block ×4, first 2 shown]
	v_mul_f64 v[148:149], v[148:149], s[28:29]
	v_add_f64 v[166:167], v[212:213], v[166:167]
	v_fma_f64 v[210:211], v[182:183], s[4:5], -v[191:192]
	v_fma_f64 v[191:192], v[182:183], s[4:5], v[191:192]
	v_add_f64 v[176:177], v[210:211], v[176:177]
	v_mul_f64 v[210:211], v[146:147], s[36:37]
	v_add_f64 v[152:153], v[191:192], v[152:153]
	v_mul_f64 v[146:147], v[146:147], s[28:29]
	v_fma_f64 v[191:192], v[184:185], s[4:5], -v[210:211]
	v_fma_f64 v[212:213], v[184:185], s[4:5], v[210:211]
	v_add_f64 v[154:155], v[191:192], v[154:155]
	v_fma_f64 v[191:192], v[182:183], s[16:17], -v[148:149]
	v_fma_f64 v[148:149], v[182:183], s[16:17], v[148:149]
	v_add_f64 v[150:151], v[212:213], v[150:151]
	v_add_f64 v[162:163], v[191:192], v[162:163]
	v_fma_f64 v[191:192], v[184:185], s[16:17], v[146:147]
	v_add_f64 v[116:117], v[148:149], v[116:117]
	v_fma_f64 v[146:147], v[184:185], s[16:17], -v[146:147]
	v_add_f64 v[148:149], v[138:139], v[142:143]
	v_add_f64 v[138:139], v[138:139], -v[142:143]
	v_add_f64 v[164:165], v[191:192], v[164:165]
	v_add_f64 v[118:119], v[146:147], v[118:119]
	;; [unrolled: 1-line block ×3, first 2 shown]
	v_mul_f64 v[142:143], v[138:139], s[14:15]
	v_add_f64 v[140:141], v[140:141], -v[144:145]
	v_fma_f64 v[144:145], v[146:147], s[4:5], -v[142:143]
	v_fma_f64 v[142:143], v[146:147], s[4:5], v[142:143]
	v_add_f64 v[144:145], v[144:145], v[178:179]
	v_mul_f64 v[178:179], v[140:141], s[14:15]
	v_add_f64 v[142:143], v[142:143], v[174:175]
	v_fma_f64 v[182:183], v[148:149], s[4:5], v[178:179]
	v_fma_f64 v[174:175], v[148:149], s[4:5], -v[178:179]
	v_mul_f64 v[178:179], v[138:139], s[38:39]
	v_add_f64 v[182:183], v[182:183], v[188:189]
	v_add_f64 v[174:175], v[174:175], v[186:187]
	v_fma_f64 v[184:185], v[146:147], s[22:23], -v[178:179]
	v_mul_f64 v[186:187], v[140:141], s[38:39]
	v_fma_f64 v[178:179], v[146:147], s[22:23], v[178:179]
	v_add_f64 v[184:185], v[184:185], v[193:194]
	v_fma_f64 v[188:189], v[148:149], s[22:23], v[186:187]
	v_add_f64 v[158:159], v[178:179], v[158:159]
	v_fma_f64 v[178:179], v[148:149], s[22:23], -v[186:187]
	v_add_f64 v[156:157], v[188:189], v[156:157]
	v_add_f64 v[160:161], v[178:179], v[160:161]
	v_mul_f64 v[178:179], v[138:139], s[30:31]
	v_fma_f64 v[186:187], v[146:147], s[6:7], -v[178:179]
	v_fma_f64 v[178:179], v[146:147], s[6:7], v[178:179]
	v_add_f64 v[172:173], v[186:187], v[172:173]
	v_mul_f64 v[186:187], v[140:141], s[30:31]
	v_add_f64 v[168:169], v[178:179], v[168:169]
	v_fma_f64 v[178:179], v[148:149], s[6:7], -v[186:187]
	v_fma_f64 v[188:189], v[148:149], s[6:7], v[186:187]
	v_add_f64 v[170:171], v[178:179], v[170:171]
	v_mul_f64 v[178:179], v[138:139], s[24:25]
	v_mul_f64 v[138:139], v[138:139], s[20:21]
	v_add_f64 v[166:167], v[188:189], v[166:167]
	v_fma_f64 v[186:187], v[146:147], s[16:17], -v[178:179]
	v_fma_f64 v[178:179], v[146:147], s[16:17], v[178:179]
	v_add_f64 v[176:177], v[186:187], v[176:177]
	v_mul_f64 v[186:187], v[140:141], s[24:25]
	v_add_f64 v[152:153], v[178:179], v[152:153]
	v_mul_f64 v[140:141], v[140:141], s[20:21]
	v_fma_f64 v[178:179], v[148:149], s[16:17], -v[186:187]
	v_fma_f64 v[188:189], v[148:149], s[16:17], v[186:187]
	v_add_f64 v[186:187], v[122:123], -v[124:125]
	v_add_f64 v[154:155], v[178:179], v[154:155]
	v_fma_f64 v[178:179], v[146:147], s[18:19], -v[138:139]
	v_fma_f64 v[138:139], v[146:147], s[18:19], v[138:139]
	v_add_f64 v[150:151], v[188:189], v[150:151]
	v_mad_u64_u32 v[188:189], s[40:41], v200, s33, v[120:121]
	v_add_f64 v[162:163], v[178:179], v[162:163]
	v_fma_f64 v[178:179], v[148:149], s[18:19], v[140:141]
	v_add_f64 v[116:117], v[138:139], v[116:117]
	v_fma_f64 v[138:139], v[148:149], s[18:19], -v[140:141]
	v_add_f64 v[140:141], v[130:131], v[134:135]
	v_add_f64 v[130:131], v[130:131], -v[134:135]
	v_add_f64 v[164:165], v[178:179], v[164:165]
	v_add_f64 v[118:119], v[138:139], v[118:119]
	;; [unrolled: 1-line block ×3, first 2 shown]
	v_mul_f64 v[134:135], v[130:131], s[20:21]
	v_add_f64 v[132:133], v[132:133], -v[136:137]
	v_fma_f64 v[136:137], v[138:139], s[18:19], -v[134:135]
	v_fma_f64 v[134:135], v[138:139], s[18:19], v[134:135]
	v_add_f64 v[136:137], v[136:137], v[144:145]
	v_mul_f64 v[144:145], v[132:133], s[20:21]
	v_add_f64 v[134:135], v[134:135], v[142:143]
	v_fma_f64 v[146:147], v[140:141], s[18:19], v[144:145]
	v_fma_f64 v[142:143], v[140:141], s[18:19], -v[144:145]
	v_mul_f64 v[144:145], v[130:131], s[36:37]
	v_add_f64 v[146:147], v[146:147], v[182:183]
	v_add_f64 v[142:143], v[142:143], v[174:175]
	v_fma_f64 v[148:149], v[138:139], s[4:5], -v[144:145]
	v_mul_f64 v[174:175], v[132:133], s[36:37]
	v_fma_f64 v[144:145], v[138:139], s[4:5], v[144:145]
	v_add_f64 v[182:183], v[122:123], v[124:125]
	v_mul_f64 v[122:123], v[186:187], s[26:27]
	v_add_f64 v[148:149], v[148:149], v[184:185]
	v_fma_f64 v[178:179], v[140:141], s[4:5], v[174:175]
	v_add_f64 v[144:145], v[144:145], v[158:159]
	v_fma_f64 v[158:159], v[140:141], s[4:5], -v[174:175]
	v_add_f64 v[184:185], v[126:127], -v[128:129]
	v_add_f64 v[156:157], v[178:179], v[156:157]
	v_add_f64 v[158:159], v[158:159], v[160:161]
	v_mul_f64 v[160:161], v[130:131], s[24:25]
	v_mul_f64 v[124:125], v[184:185], s[26:27]
	v_fma_f64 v[174:175], v[138:139], s[16:17], -v[160:161]
	v_fma_f64 v[160:161], v[138:139], s[16:17], v[160:161]
	v_add_f64 v[172:173], v[174:175], v[172:173]
	v_mul_f64 v[174:175], v[132:133], s[24:25]
	v_add_f64 v[160:161], v[160:161], v[168:169]
	v_fma_f64 v[168:169], v[140:141], s[16:17], -v[174:175]
	v_fma_f64 v[178:179], v[140:141], s[16:17], v[174:175]
	v_add_f64 v[168:169], v[168:169], v[170:171]
	v_mul_f64 v[170:171], v[130:131], s[26:27]
	v_mul_f64 v[130:131], v[130:131], s[30:31]
	v_add_f64 v[166:167], v[178:179], v[166:167]
	v_fma_f64 v[174:175], v[138:139], s[22:23], -v[170:171]
	v_fma_f64 v[170:171], v[138:139], s[22:23], v[170:171]
	v_add_f64 v[174:175], v[174:175], v[176:177]
	v_mul_f64 v[176:177], v[132:133], s[26:27]
	v_add_f64 v[152:153], v[170:171], v[152:153]
	v_mul_f64 v[132:133], v[132:133], s[30:31]
	v_fma_f64 v[170:171], v[140:141], s[22:23], -v[176:177]
	v_fma_f64 v[178:179], v[140:141], s[22:23], v[176:177]
	v_add_f64 v[154:155], v[170:171], v[154:155]
	v_fma_f64 v[170:171], v[138:139], s[6:7], -v[130:131]
	v_fma_f64 v[130:131], v[138:139], s[6:7], v[130:131]
	v_add_f64 v[150:151], v[178:179], v[150:151]
	v_add_f64 v[178:179], v[126:127], v[128:129]
	v_mul_f64 v[138:139], v[186:187], s[20:21]
	v_add_f64 v[162:163], v[170:171], v[162:163]
	v_fma_f64 v[170:171], v[140:141], s[6:7], v[132:133]
	v_add_f64 v[164:165], v[170:171], v[164:165]
	v_add_f64 v[170:171], v[130:131], v[116:117]
	v_mul_f64 v[130:131], v[186:187], s[28:29]
	v_fma_f64 v[116:117], v[140:141], s[6:7], -v[132:133]
	v_mul_f64 v[132:133], v[184:185], s[28:29]
	v_mul_f64 v[140:141], v[184:185], s[20:21]
	v_fma_f64 v[126:127], v[178:179], s[16:17], -v[130:131]
	v_add_f64 v[176:177], v[116:117], v[118:119]
	v_fma_f64 v[118:119], v[182:183], s[22:23], v[124:125]
	v_fma_f64 v[130:131], v[178:179], s[16:17], v[130:131]
	v_fma_f64 v[124:125], v[182:183], s[22:23], -v[124:125]
	v_fma_f64 v[128:129], v[182:183], s[16:17], v[132:133]
	v_fma_f64 v[116:117], v[178:179], s[22:23], -v[122:123]
	v_fma_f64 v[122:123], v[178:179], s[22:23], v[122:123]
	v_add_f64 v[126:127], v[126:127], v[148:149]
	v_mul_f64 v[148:149], v[184:185], s[30:31]
	v_add_f64 v[118:119], v[118:119], v[146:147]
	v_add_f64 v[130:131], v[130:131], v[144:145]
	v_mul_f64 v[146:147], v[186:187], s[30:31]
	v_add_f64 v[124:125], v[124:125], v[142:143]
	;; [unrolled: 3-line block ×3, first 2 shown]
	v_fma_f64 v[144:145], v[182:183], s[6:7], v[148:149]
	v_fma_f64 v[148:149], v[182:183], s[6:7], -v[148:149]
	v_add_f64 v[122:123], v[122:123], v[134:135]
	v_fma_f64 v[142:143], v[178:179], s[6:7], -v[146:147]
	v_fma_f64 v[146:147], v[178:179], s[6:7], v[146:147]
	v_fma_f64 v[134:135], v[178:179], s[18:19], -v[138:139]
	v_fma_f64 v[136:137], v[182:183], s[18:19], v[140:141]
	v_fma_f64 v[132:133], v[182:183], s[16:17], -v[132:133]
	v_add_f64 v[144:145], v[144:145], v[150:151]
	v_add_f64 v[148:149], v[148:149], v[154:155]
	v_mul_f64 v[154:155], v[186:187], s[14:15]
	v_fma_f64 v[138:139], v[178:179], s[18:19], v[138:139]
	v_add_f64 v[146:147], v[146:147], v[152:153]
	v_fma_f64 v[152:153], v[182:183], s[4:5], v[156:157]
	v_fma_f64 v[156:157], v[182:183], s[4:5], -v[156:157]
	v_fma_f64 v[140:141], v[182:183], s[18:19], -v[140:141]
	v_add_f64 v[134:135], v[134:135], v[172:173]
	v_add_f64 v[136:137], v[136:137], v[166:167]
	v_fma_f64 v[150:151], v[178:179], s[4:5], -v[154:155]
	v_fma_f64 v[154:155], v[178:179], s[4:5], v[154:155]
	v_add_f64 v[142:143], v[142:143], v[174:175]
	v_add_f64 v[152:153], v[152:153], v[164:165]
	;; [unrolled: 1-line block ×4, first 2 shown]
	v_mul_u32_u24_e32 v158, 0x6e, v180
	v_add_f64 v[138:139], v[138:139], v[160:161]
	v_add_f64 v[150:151], v[150:151], v[162:163]
	;; [unrolled: 1-line block ×4, first 2 shown]
	v_add_lshl_u32 v210, v158, v181, 4
	ds_write_b128 v210, v[112:115]
	ds_write_b128 v210, v[116:119] offset:160
	ds_write_b128 v210, v[126:129] offset:320
	;; [unrolled: 1-line block ×10, first 2 shown]
	s_waitcnt lgkmcnt(0)
	s_barrier
	ds_read_b128 v[156:159], v197
	ds_read_b128 v[122:125], v197 offset:1760
	ds_read_b128 v[126:129], v197 offset:3520
	;; [unrolled: 1-line block ×10, first 2 shown]
	global_load_dwordx4 v[112:115], v[188:189], off offset:1776
	global_load_dwordx4 v[116:119], v[188:189], off offset:1760
	;; [unrolled: 1-line block ×4, first 2 shown]
	s_waitcnt vmcnt(0) lgkmcnt(9)
	v_mul_f64 v[120:121], v[124:125], v[138:139]
	v_fma_f64 v[219:220], v[122:123], v[136:137], -v[120:121]
	v_mul_f64 v[120:121], v[122:123], v[138:139]
	v_fma_f64 v[221:222], v[124:125], v[136:137], v[120:121]
	s_waitcnt lgkmcnt(8)
	v_mul_f64 v[120:121], v[128:129], v[134:135]
	v_fma_f64 v[186:187], v[126:127], v[132:133], -v[120:121]
	v_mul_f64 v[120:121], v[126:127], v[134:135]
	v_fma_f64 v[184:185], v[128:129], v[132:133], v[120:121]
	s_waitcnt lgkmcnt(7)
	;; [unrolled: 5-line block ×3, first 2 shown]
	v_mul_f64 v[120:121], v[146:147], v[114:115]
	v_fma_f64 v[170:171], v[144:145], v[112:113], -v[120:121]
	v_mul_f64 v[120:121], v[144:145], v[114:115]
	v_fma_f64 v[168:169], v[146:147], v[112:113], v[120:121]
	global_load_dwordx4 v[120:123], v[188:189], off offset:1840
	global_load_dwordx4 v[124:127], v[188:189], off offset:1824
	;; [unrolled: 1-line block ×4, first 2 shown]
	s_waitcnt vmcnt(0) lgkmcnt(5)
	v_mul_f64 v[144:145], v[150:151], v[142:143]
	v_fma_f64 v[164:165], v[148:149], v[140:141], -v[144:145]
	v_mul_f64 v[144:145], v[148:149], v[142:143]
	v_fma_f64 v[160:161], v[150:151], v[140:141], v[144:145]
	s_waitcnt lgkmcnt(4)
	v_mul_f64 v[144:145], v[154:155], v[130:131]
	v_fma_f64 v[166:167], v[152:153], v[128:129], -v[144:145]
	v_mul_f64 v[144:145], v[152:153], v[130:131]
	v_fma_f64 v[162:163], v[154:155], v[128:129], v[144:145]
	s_waitcnt lgkmcnt(3)
	v_mul_f64 v[144:145], v[182:183], v[126:127]
	v_add_f64 v[154:155], v[158:159], v[221:222]
	v_fma_f64 v[174:175], v[180:181], v[124:125], -v[144:145]
	v_mul_f64 v[144:145], v[180:181], v[126:127]
	v_add_f64 v[154:155], v[154:155], v[184:185]
	v_fma_f64 v[172:173], v[182:183], v[124:125], v[144:145]
	s_waitcnt lgkmcnt(2)
	v_mul_f64 v[144:145], v[193:194], v[122:123]
	v_add_f64 v[154:155], v[154:155], v[176:177]
	v_fma_f64 v[182:183], v[191:192], v[120:121], -v[144:145]
	v_mul_f64 v[144:145], v[191:192], v[122:123]
	v_add_f64 v[154:155], v[154:155], v[168:169]
	v_fma_f64 v[180:181], v[193:194], v[120:121], v[144:145]
	global_load_dwordx4 v[144:147], v[188:189], off offset:1872
	global_load_dwordx4 v[148:151], v[188:189], off offset:1856
	v_add_f64 v[154:155], v[154:155], v[160:161]
	v_add_f64 v[154:155], v[154:155], v[162:163]
	;; [unrolled: 1-line block ×4, first 2 shown]
	s_waitcnt vmcnt(0) lgkmcnt(1)
	v_mul_f64 v[152:153], v[213:214], v[150:151]
	v_fma_f64 v[191:192], v[211:212], v[148:149], -v[152:153]
	v_mul_f64 v[152:153], v[211:212], v[150:151]
	v_fma_f64 v[188:189], v[213:214], v[148:149], v[152:153]
	s_waitcnt lgkmcnt(0)
	v_mul_f64 v[152:153], v[217:218], v[146:147]
	v_add_f64 v[154:155], v[154:155], v[188:189]
	v_fma_f64 v[193:194], v[215:216], v[144:145], -v[152:153]
	v_mul_f64 v[152:153], v[215:216], v[146:147]
	v_add_f64 v[213:214], v[219:220], v[193:194]
	v_fma_f64 v[211:212], v[217:218], v[144:145], v[152:153]
	v_add_f64 v[152:153], v[156:157], v[219:220]
	v_add_f64 v[154:155], v[154:155], v[211:212]
	;; [unrolled: 1-line block ×4, first 2 shown]
	v_add_f64 v[211:212], v[221:222], -v[211:212]
	v_add_f64 v[152:153], v[152:153], v[178:179]
	v_mul_f64 v[217:218], v[211:212], s[24:25]
	v_mul_f64 v[225:226], v[211:212], s[34:35]
	;; [unrolled: 1-line block ×5, first 2 shown]
	v_add_f64 v[152:153], v[152:153], v[170:171]
	v_fma_f64 v[227:228], v[213:214], s[6:7], -v[225:226]
	v_fma_f64 v[225:226], v[213:214], s[6:7], v[225:226]
	v_fma_f64 v[235:236], v[213:214], s[4:5], -v[233:234]
	v_fma_f64 v[233:234], v[213:214], s[4:5], v[233:234]
	v_fma_f64 v[243:244], v[213:214], s[18:19], -v[241:242]
	v_add_f64 v[152:153], v[152:153], v[164:165]
	v_fma_f64 v[241:242], v[213:214], s[18:19], v[241:242]
	v_fma_f64 v[249:250], v[213:214], s[22:23], -v[211:212]
	v_fma_f64 v[211:212], v[213:214], s[22:23], v[211:212]
	v_add_f64 v[227:228], v[156:157], v[227:228]
	v_add_f64 v[225:226], v[156:157], v[225:226]
	;; [unrolled: 1-line block ×12, first 2 shown]
	v_add_f64 v[193:194], v[219:220], -v[193:194]
	v_fma_f64 v[219:220], v[213:214], s[16:17], -v[217:218]
	v_fma_f64 v[217:218], v[213:214], s[16:17], v[217:218]
	v_mul_f64 v[221:222], v[193:194], s[24:25]
	v_mul_f64 v[229:230], v[193:194], s[34:35]
	;; [unrolled: 1-line block ×5, first 2 shown]
	v_add_f64 v[219:220], v[156:157], v[219:220]
	v_add_f64 v[217:218], v[156:157], v[217:218]
	;; [unrolled: 1-line block ×3, first 2 shown]
	v_fma_f64 v[223:224], v[215:216], s[16:17], v[221:222]
	v_fma_f64 v[221:222], v[215:216], s[16:17], -v[221:222]
	v_fma_f64 v[231:232], v[215:216], s[6:7], v[229:230]
	v_fma_f64 v[229:230], v[215:216], s[6:7], -v[229:230]
	;; [unrolled: 2-line block ×5, first 2 shown]
	v_add_f64 v[211:212], v[184:185], v[188:189]
	v_add_f64 v[184:185], v[184:185], -v[188:189]
	v_add_f64 v[223:224], v[158:159], v[223:224]
	v_add_f64 v[221:222], v[158:159], v[221:222]
	;; [unrolled: 1-line block ×11, first 2 shown]
	v_mul_f64 v[188:189], v[184:185], s[34:35]
	v_add_f64 v[186:187], v[186:187], -v[191:192]
	v_fma_f64 v[191:192], v[193:194], s[6:7], -v[188:189]
	v_fma_f64 v[188:189], v[193:194], s[6:7], v[188:189]
	v_mul_f64 v[213:214], v[186:187], s[34:35]
	v_add_f64 v[191:192], v[191:192], v[219:220]
	v_add_f64 v[188:189], v[188:189], v[217:218]
	v_mul_f64 v[217:218], v[184:185], s[20:21]
	v_fma_f64 v[215:216], v[211:212], s[6:7], v[213:214]
	v_fma_f64 v[213:214], v[211:212], s[6:7], -v[213:214]
	v_fma_f64 v[219:220], v[193:194], s[18:19], -v[217:218]
	v_fma_f64 v[217:218], v[193:194], s[18:19], v[217:218]
	v_add_f64 v[213:214], v[213:214], v[221:222]
	v_mul_f64 v[221:222], v[186:187], s[20:21]
	v_add_f64 v[215:216], v[215:216], v[223:224]
	v_add_f64 v[219:220], v[219:220], v[227:228]
	;; [unrolled: 1-line block ×3, first 2 shown]
	v_mul_f64 v[225:226], v[184:185], s[38:39]
	v_fma_f64 v[223:224], v[211:212], s[18:19], v[221:222]
	v_fma_f64 v[221:222], v[211:212], s[18:19], -v[221:222]
	v_fma_f64 v[227:228], v[193:194], s[22:23], -v[225:226]
	v_fma_f64 v[225:226], v[193:194], s[22:23], v[225:226]
	v_add_f64 v[221:222], v[221:222], v[229:230]
	v_mul_f64 v[229:230], v[186:187], s[38:39]
	v_add_f64 v[223:224], v[223:224], v[231:232]
	v_add_f64 v[227:228], v[227:228], v[235:236]
	v_add_f64 v[225:226], v[225:226], v[233:234]
	v_mul_f64 v[233:234], v[184:185], s[36:37]
	v_fma_f64 v[231:232], v[211:212], s[22:23], v[229:230]
	v_fma_f64 v[229:230], v[211:212], s[22:23], -v[229:230]
	v_mul_f64 v[184:185], v[184:185], s[28:29]
	v_fma_f64 v[235:236], v[193:194], s[4:5], -v[233:234]
	v_fma_f64 v[233:234], v[193:194], s[4:5], v[233:234]
	v_add_f64 v[229:230], v[229:230], v[237:238]
	v_mul_f64 v[237:238], v[186:187], s[36:37]
	v_mul_f64 v[186:187], v[186:187], s[28:29]
	v_add_f64 v[231:232], v[231:232], v[239:240]
	v_add_f64 v[235:236], v[235:236], v[243:244]
	;; [unrolled: 1-line block ×3, first 2 shown]
	v_fma_f64 v[241:242], v[193:194], s[16:17], -v[184:185]
	v_fma_f64 v[184:185], v[193:194], s[16:17], v[184:185]
	v_fma_f64 v[243:244], v[211:212], s[16:17], v[186:187]
	;; [unrolled: 1-line block ×3, first 2 shown]
	v_fma_f64 v[237:238], v[211:212], s[4:5], -v[237:238]
	v_add_f64 v[241:242], v[241:242], v[249:250]
	v_add_f64 v[156:157], v[184:185], v[156:157]
	v_fma_f64 v[184:185], v[211:212], s[16:17], -v[186:187]
	v_add_f64 v[186:187], v[176:177], v[180:181]
	v_add_f64 v[176:177], v[176:177], -v[180:181]
	v_add_f64 v[237:238], v[237:238], v[245:246]
	v_add_f64 v[239:240], v[239:240], v[247:248]
	;; [unrolled: 1-line block ×5, first 2 shown]
	v_mul_f64 v[180:181], v[176:177], s[14:15]
	v_add_f64 v[178:179], v[178:179], -v[182:183]
	v_fma_f64 v[182:183], v[184:185], s[4:5], -v[180:181]
	v_fma_f64 v[180:181], v[184:185], s[4:5], v[180:181]
	v_add_f64 v[182:183], v[182:183], v[191:192]
	v_mul_f64 v[191:192], v[178:179], s[14:15]
	v_add_f64 v[180:181], v[180:181], v[188:189]
	v_fma_f64 v[193:194], v[186:187], s[4:5], v[191:192]
	v_fma_f64 v[188:189], v[186:187], s[4:5], -v[191:192]
	v_mul_f64 v[191:192], v[176:177], s[38:39]
	v_add_f64 v[193:194], v[193:194], v[215:216]
	v_add_f64 v[188:189], v[188:189], v[213:214]
	v_fma_f64 v[211:212], v[184:185], s[22:23], -v[191:192]
	v_fma_f64 v[191:192], v[184:185], s[22:23], v[191:192]
	v_mul_f64 v[213:214], v[178:179], s[38:39]
	v_add_f64 v[211:212], v[211:212], v[219:220]
	v_add_f64 v[191:192], v[191:192], v[217:218]
	v_mul_f64 v[217:218], v[176:177], s[30:31]
	v_fma_f64 v[215:216], v[186:187], s[22:23], v[213:214]
	v_fma_f64 v[213:214], v[186:187], s[22:23], -v[213:214]
	v_fma_f64 v[219:220], v[184:185], s[6:7], -v[217:218]
	v_fma_f64 v[217:218], v[184:185], s[6:7], v[217:218]
	v_add_f64 v[213:214], v[213:214], v[221:222]
	v_mul_f64 v[221:222], v[178:179], s[30:31]
	v_add_f64 v[215:216], v[215:216], v[223:224]
	v_add_f64 v[219:220], v[219:220], v[227:228]
	;; [unrolled: 1-line block ×3, first 2 shown]
	v_mul_f64 v[225:226], v[176:177], s[24:25]
	v_fma_f64 v[223:224], v[186:187], s[6:7], v[221:222]
	v_fma_f64 v[221:222], v[186:187], s[6:7], -v[221:222]
	v_mul_f64 v[176:177], v[176:177], s[20:21]
	v_fma_f64 v[227:228], v[184:185], s[16:17], -v[225:226]
	v_fma_f64 v[225:226], v[184:185], s[16:17], v[225:226]
	v_add_f64 v[221:222], v[221:222], v[229:230]
	v_mul_f64 v[229:230], v[178:179], s[24:25]
	v_mul_f64 v[178:179], v[178:179], s[20:21]
	v_add_f64 v[223:224], v[223:224], v[231:232]
	v_add_f64 v[227:228], v[227:228], v[235:236]
	;; [unrolled: 1-line block ×3, first 2 shown]
	v_fma_f64 v[233:234], v[184:185], s[18:19], -v[176:177]
	v_fma_f64 v[176:177], v[184:185], s[18:19], v[176:177]
	v_fma_f64 v[235:236], v[186:187], s[18:19], v[178:179]
	;; [unrolled: 1-line block ×3, first 2 shown]
	v_fma_f64 v[229:230], v[186:187], s[16:17], -v[229:230]
	v_add_f64 v[233:234], v[233:234], v[241:242]
	v_add_f64 v[156:157], v[176:177], v[156:157]
	v_fma_f64 v[176:177], v[186:187], s[18:19], -v[178:179]
	v_add_f64 v[178:179], v[168:169], v[172:173]
	v_add_f64 v[168:169], v[168:169], -v[172:173]
	v_add_f64 v[229:230], v[229:230], v[237:238]
	v_add_f64 v[231:232], v[231:232], v[239:240]
	v_add_f64 v[239:240], v[160:161], -v[162:163]
	v_add_f64 v[235:236], v[235:236], v[243:244]
	v_add_f64 v[237:238], v[164:165], -v[166:167]
	v_add_f64 v[158:159], v[176:177], v[158:159]
	v_add_f64 v[176:177], v[170:171], v[174:175]
	v_mul_f64 v[172:173], v[168:169], s[20:21]
	v_add_f64 v[170:171], v[170:171], -v[174:175]
	v_fma_f64 v[174:175], v[176:177], s[18:19], -v[172:173]
	v_fma_f64 v[172:173], v[176:177], s[18:19], v[172:173]
	v_add_f64 v[174:175], v[174:175], v[182:183]
	v_mul_f64 v[182:183], v[170:171], s[20:21]
	v_add_f64 v[172:173], v[172:173], v[180:181]
	v_fma_f64 v[184:185], v[178:179], s[18:19], v[182:183]
	v_fma_f64 v[180:181], v[178:179], s[18:19], -v[182:183]
	v_mul_f64 v[182:183], v[168:169], s[36:37]
	v_add_f64 v[184:185], v[184:185], v[193:194]
	v_add_f64 v[180:181], v[180:181], v[188:189]
	v_fma_f64 v[186:187], v[176:177], s[4:5], -v[182:183]
	v_mul_f64 v[188:189], v[170:171], s[36:37]
	v_fma_f64 v[182:183], v[176:177], s[4:5], v[182:183]
	v_add_f64 v[186:187], v[186:187], v[211:212]
	v_fma_f64 v[193:194], v[178:179], s[4:5], v[188:189]
	v_add_f64 v[182:183], v[182:183], v[191:192]
	v_fma_f64 v[188:189], v[178:179], s[4:5], -v[188:189]
	v_mul_f64 v[191:192], v[168:169], s[24:25]
	v_add_f64 v[193:194], v[193:194], v[215:216]
	v_add_f64 v[188:189], v[188:189], v[213:214]
	v_fma_f64 v[211:212], v[176:177], s[16:17], -v[191:192]
	v_mul_f64 v[213:214], v[170:171], s[24:25]
	v_fma_f64 v[191:192], v[176:177], s[16:17], v[191:192]
	v_add_f64 v[211:212], v[211:212], v[219:220]
	v_fma_f64 v[215:216], v[178:179], s[16:17], v[213:214]
	v_add_f64 v[191:192], v[191:192], v[217:218]
	v_fma_f64 v[213:214], v[178:179], s[16:17], -v[213:214]
	v_mul_f64 v[217:218], v[168:169], s[26:27]
	v_mul_f64 v[168:169], v[168:169], s[30:31]
	v_add_f64 v[215:216], v[215:216], v[223:224]
	v_add_f64 v[213:214], v[213:214], v[221:222]
	v_fma_f64 v[219:220], v[176:177], s[22:23], -v[217:218]
	v_mul_f64 v[221:222], v[170:171], s[26:27]
	v_fma_f64 v[217:218], v[176:177], s[22:23], v[217:218]
	v_mul_f64 v[170:171], v[170:171], s[30:31]
	v_add_f64 v[219:220], v[219:220], v[227:228]
	v_fma_f64 v[223:224], v[178:179], s[22:23], v[221:222]
	v_add_f64 v[217:218], v[217:218], v[225:226]
	v_fma_f64 v[221:222], v[178:179], s[22:23], -v[221:222]
	v_fma_f64 v[225:226], v[176:177], s[6:7], -v[168:169]
	v_fma_f64 v[168:169], v[176:177], s[6:7], v[168:169]
	v_fma_f64 v[227:228], v[178:179], s[6:7], v[170:171]
	v_mul_f64 v[176:177], v[239:240], s[20:21]
	v_add_f64 v[223:224], v[223:224], v[231:232]
	v_add_f64 v[221:222], v[221:222], v[229:230]
	;; [unrolled: 1-line block ×4, first 2 shown]
	v_fma_f64 v[156:157], v[178:179], s[6:7], -v[170:171]
	v_add_f64 v[233:234], v[164:165], v[166:167]
	v_add_f64 v[227:228], v[227:228], v[235:236]
	;; [unrolled: 1-line block ×3, first 2 shown]
	v_mul_f64 v[170:171], v[237:238], s[28:29]
	v_mul_f64 v[168:169], v[239:240], s[28:29]
	;; [unrolled: 1-line block ×3, first 2 shown]
	v_add_f64 v[231:232], v[156:157], v[158:159]
	v_mul_f64 v[156:157], v[239:240], s[26:27]
	v_fma_f64 v[166:167], v[235:236], s[16:17], v[170:171]
	v_fma_f64 v[170:171], v[235:236], s[16:17], -v[170:171]
	v_fma_f64 v[164:165], v[233:234], s[16:17], -v[168:169]
	v_fma_f64 v[168:169], v[233:234], s[16:17], v[168:169]
	v_fma_f64 v[158:159], v[233:234], s[22:23], -v[156:157]
	v_fma_f64 v[156:157], v[233:234], s[22:23], v[156:157]
	v_add_f64 v[166:167], v[166:167], v[193:194]
	v_add_f64 v[170:171], v[170:171], v[188:189]
	v_mul_f64 v[188:189], v[239:240], s[14:15]
	v_add_f64 v[164:165], v[164:165], v[186:187]
	v_mul_f64 v[186:187], v[237:238], s[30:31]
	;; [unrolled: 2-line block ×3, first 2 shown]
	v_fma_f64 v[174:175], v[235:236], s[18:19], v[178:179]
	v_fma_f64 v[178:179], v[235:236], s[18:19], -v[178:179]
	v_add_f64 v[156:157], v[156:157], v[172:173]
	v_fma_f64 v[172:173], v[233:234], s[18:19], -v[176:177]
	v_fma_f64 v[176:177], v[233:234], s[18:19], v[176:177]
	v_add_f64 v[168:169], v[168:169], v[182:183]
	v_fma_f64 v[182:183], v[235:236], s[6:7], v[186:187]
	v_fma_f64 v[162:163], v[235:236], s[22:23], v[158:159]
	v_fma_f64 v[158:159], v[235:236], s[22:23], -v[158:159]
	v_add_f64 v[178:179], v[178:179], v[213:214]
	v_mul_f64 v[213:214], v[237:238], s[14:15]
	v_add_f64 v[172:173], v[172:173], v[211:212]
	v_add_f64 v[176:177], v[176:177], v[191:192]
	v_fma_f64 v[191:192], v[233:234], s[4:5], -v[188:189]
	v_fma_f64 v[188:189], v[233:234], s[4:5], v[188:189]
	v_add_f64 v[162:163], v[162:163], v[184:185]
	v_mul_f64 v[184:185], v[239:240], s[30:31]
	v_add_f64 v[158:159], v[158:159], v[180:181]
	v_fma_f64 v[193:194], v[235:236], s[4:5], v[213:214]
	v_fma_f64 v[186:187], v[235:236], s[6:7], -v[186:187]
	v_add_f64 v[174:175], v[174:175], v[215:216]
	v_add_f64 v[182:183], v[182:183], v[223:224]
	;; [unrolled: 1-line block ×3, first 2 shown]
	v_fma_f64 v[188:189], v[235:236], s[4:5], -v[213:214]
	v_fma_f64 v[180:181], v[233:234], s[6:7], -v[184:185]
	v_fma_f64 v[184:185], v[233:234], s[6:7], v[184:185]
	v_add_f64 v[191:192], v[191:192], v[225:226]
	v_add_f64 v[193:194], v[193:194], v[227:228]
	;; [unrolled: 1-line block ×3, first 2 shown]
	s_movk_i32 s4, 0x4ba0
	s_movk_i32 s6, 0x4000
	v_add_f64 v[213:214], v[188:189], v[231:232]
	v_add_f64 v[180:181], v[180:181], v[219:220]
	;; [unrolled: 1-line block ×3, first 2 shown]
	ds_write_b128 v197, v[152:155]
	ds_write_b128 v197, v[160:163] offset:1760
	ds_write_b128 v197, v[164:167] offset:3520
	ds_write_b128 v197, v[172:175] offset:5280
	ds_write_b128 v197, v[180:183] offset:7040
	ds_write_b128 v197, v[191:194] offset:8800
	ds_write_b128 v197, v[211:214] offset:10560
	ds_write_b128 v197, v[184:187] offset:12320
	ds_write_b128 v197, v[176:179] offset:14080
	ds_write_b128 v197, v[168:171] offset:15840
	ds_write_b128 v197, v[156:159] offset:17600
	v_add_co_u32_e32 v152, vcc, s4, v198
	v_addc_co_u32_e32 v153, vcc, 0, v190, vcc
	v_add_co_u32_e32 v154, vcc, s6, v198
	v_addc_co_u32_e32 v155, vcc, 0, v190, vcc
	s_waitcnt lgkmcnt(0)
	s_barrier
	global_load_dwordx4 v[164:167], v[154:155], off offset:2976
	ds_read_b128 v[160:163], v197
	s_movk_i32 s4, 0x7000
	s_waitcnt vmcnt(0) lgkmcnt(0)
	v_mul_f64 v[154:155], v[162:163], v[166:167]
	v_fma_f64 v[168:169], v[160:161], v[164:165], -v[154:155]
	v_mul_f64 v[154:155], v[160:161], v[166:167]
	v_fma_f64 v[170:171], v[162:163], v[164:165], v[154:155]
	v_add_co_u32_e32 v154, vcc, s4, v198
	v_addc_co_u32_e32 v155, vcc, 0, v190, vcc
	global_load_dwordx4 v[164:167], v[154:155], off offset:368
	ds_read_b128 v[160:163], v197 offset:9680
	s_movk_i32 s4, 0x6000
	ds_write_b128 v197, v[168:171]
	s_waitcnt vmcnt(0) lgkmcnt(1)
	v_mul_f64 v[168:169], v[162:163], v[166:167]
	v_fma_f64 v[168:169], v[160:161], v[164:165], -v[168:169]
	v_mul_f64 v[160:161], v[160:161], v[166:167]
	v_fma_f64 v[170:171], v[162:163], v[164:165], v[160:161]
	global_load_dwordx4 v[164:167], v[152:153], off offset:1760
	ds_read_b128 v[160:163], v197 offset:1760
	ds_write_b128 v197, v[168:171] offset:9680
	s_waitcnt vmcnt(0) lgkmcnt(1)
	v_mul_f64 v[168:169], v[162:163], v[166:167]
	v_fma_f64 v[168:169], v[160:161], v[164:165], -v[168:169]
	v_mul_f64 v[160:161], v[160:161], v[166:167]
	v_fma_f64 v[170:171], v[162:163], v[164:165], v[160:161]
	global_load_dwordx4 v[164:167], v[154:155], off offset:2128
	ds_read_b128 v[160:163], v197 offset:11440
	ds_write_b128 v197, v[168:171] offset:1760
	;; [unrolled: 8-line block ×4, first 2 shown]
	s_waitcnt vmcnt(0) lgkmcnt(1)
	v_mul_f64 v[154:155], v[162:163], v[166:167]
	v_fma_f64 v[168:169], v[160:161], v[164:165], -v[154:155]
	v_mul_f64 v[154:155], v[160:161], v[166:167]
	v_fma_f64 v[170:171], v[162:163], v[164:165], v[154:155]
	v_add_co_u32_e32 v154, vcc, s4, v198
	v_addc_co_u32_e32 v155, vcc, 0, v190, vcc
	global_load_dwordx4 v[164:167], v[154:155], off offset:64
	ds_read_b128 v[160:163], v197 offset:5280
	s_mov_b32 s4, 0x8000
	ds_write_b128 v197, v[168:171] offset:13200
	v_add_co_u32_e32 v172, vcc, s4, v198
	v_addc_co_u32_e32 v173, vcc, 0, v190, vcc
	s_waitcnt vmcnt(0) lgkmcnt(1)
	v_mul_f64 v[168:169], v[162:163], v[166:167]
	v_fma_f64 v[168:169], v[160:161], v[164:165], -v[168:169]
	v_mul_f64 v[160:161], v[160:161], v[166:167]
	v_fma_f64 v[170:171], v[162:163], v[164:165], v[160:161]
	global_load_dwordx4 v[164:167], v[172:173], off offset:1552
	ds_read_b128 v[160:163], v197 offset:14960
	ds_write_b128 v197, v[168:171] offset:5280
	s_waitcnt vmcnt(0) lgkmcnt(1)
	v_mul_f64 v[168:169], v[162:163], v[166:167]
	v_fma_f64 v[168:169], v[160:161], v[164:165], -v[168:169]
	v_mul_f64 v[160:161], v[160:161], v[166:167]
	v_fma_f64 v[170:171], v[162:163], v[164:165], v[160:161]
	global_load_dwordx4 v[164:167], v[154:155], off offset:1824
	ds_read_b128 v[160:163], v197 offset:7040
	ds_write_b128 v197, v[168:171] offset:14960
	;; [unrolled: 8-line block ×3, first 2 shown]
	s_waitcnt vmcnt(0) lgkmcnt(1)
	v_mul_f64 v[154:155], v[162:163], v[166:167]
	v_fma_f64 v[168:169], v[160:161], v[164:165], -v[154:155]
	v_mul_f64 v[154:155], v[160:161], v[166:167]
	v_fma_f64 v[170:171], v[162:163], v[164:165], v[154:155]
	ds_write_b128 v197, v[168:171] offset:16720
	s_and_saveexec_b64 s[4:5], s[0:1]
	s_cbranch_execz .LBB0_13
; %bb.12:
	v_add_co_u32_e32 v154, vcc, 0x2000, v152
	v_addc_co_u32_e32 v155, vcc, 0, v153, vcc
	v_add_co_u32_e32 v152, vcc, s6, v152
	global_load_dwordx4 v[160:163], v[154:155], off offset:608
	v_addc_co_u32_e32 v153, vcc, 0, v153, vcc
	global_load_dwordx4 v[152:155], v[152:153], off offset:2096
	ds_read_b128 v[164:167], v197 offset:8800
	ds_read_b128 v[168:171], v197 offset:18480
	s_waitcnt vmcnt(1) lgkmcnt(1)
	v_mul_f64 v[172:173], v[166:167], v[162:163]
	v_mul_f64 v[174:175], v[164:165], v[162:163]
	s_waitcnt vmcnt(0) lgkmcnt(0)
	v_mul_f64 v[176:177], v[170:171], v[154:155]
	v_mul_f64 v[154:155], v[168:169], v[154:155]
	v_fma_f64 v[162:163], v[164:165], v[160:161], -v[172:173]
	v_fma_f64 v[164:165], v[166:167], v[160:161], v[174:175]
	v_fma_f64 v[166:167], v[168:169], v[152:153], -v[176:177]
	v_fma_f64 v[168:169], v[170:171], v[152:153], v[154:155]
	ds_write_b128 v197, v[162:165] offset:8800
	ds_write_b128 v197, v[166:169] offset:18480
.LBB0_13:
	s_or_b64 exec, exec, s[4:5]
	s_waitcnt lgkmcnt(0)
	s_barrier
	ds_read_b128 v[176:179], v197
	ds_read_b128 v[180:183], v197 offset:1760
	ds_read_b128 v[188:191], v197 offset:11440
	;; [unrolled: 1-line block ×9, first 2 shown]
	v_add_u32_e32 v211, 0x2940, v207
	v_add_u32_e32 v207, 0x3700, v207
	s_and_saveexec_b64 s[4:5], s[0:1]
	s_cbranch_execz .LBB0_15
; %bb.14:
	ds_read_b128 v[156:159], v197 offset:8800
	ds_read_b128 v[108:111], v197 offset:18480
.LBB0_15:
	s_or_b64 exec, exec, s[4:5]
	s_waitcnt lgkmcnt(3)
	v_add_f64 v[192:193], v[176:177], -v[192:193]
	v_add_f64 v[194:195], v[178:179], -v[194:195]
	s_waitcnt lgkmcnt(0)
	v_add_f64 v[212:213], v[168:169], -v[152:153]
	v_add_f64 v[214:215], v[170:171], -v[154:155]
	v_add_f64 v[152:153], v[156:157], -v[108:109]
	v_add_f64 v[154:155], v[158:159], -v[110:111]
	v_add_f64 v[188:189], v[180:181], -v[188:189]
	v_add_f64 v[190:191], v[182:183], -v[190:191]
	v_add_f64 v[184:185], v[164:165], -v[184:185]
	v_add_f64 v[186:187], v[166:167], -v[186:187]
	v_add_f64 v[172:173], v[160:161], -v[172:173]
	v_add_f64 v[174:175], v[162:163], -v[174:175]
	v_fma_f64 v[176:177], v[176:177], 2.0, -v[192:193]
	v_fma_f64 v[178:179], v[178:179], 2.0, -v[194:195]
	;; [unrolled: 1-line block ×12, first 2 shown]
	s_barrier
	ds_write_b128 v203, v[176:179]
	ds_write_b128 v203, v[192:195] offset:16
	ds_write_b128 v204, v[180:183]
	ds_write_b128 v204, v[188:191] offset:16
	ds_write_b128 v205, v[164:167]
	ds_write_b128 v205, v[184:187] offset:16
	ds_write_b128 v211, v[160:163]
	ds_write_b128 v211, v[172:175] offset:16
	ds_write_b128 v207, v[168:171]
	ds_write_b128 v207, v[212:215] offset:16
	s_and_saveexec_b64 s[4:5], s[0:1]
	s_cbranch_execz .LBB0_17
; %bb.16:
	ds_write_b128 v202, v[108:111]
	ds_write_b128 v202, v[152:155] offset:16
.LBB0_17:
	s_or_b64 exec, exec, s[4:5]
	s_waitcnt lgkmcnt(0)
	s_barrier
	ds_read_b128 v[160:163], v197
	ds_read_b128 v[156:159], v197 offset:1760
	ds_read_b128 v[184:187], v197 offset:3872
	ds_read_b128 v[176:179], v197 offset:5632
	ds_read_b128 v[188:191], v197 offset:7744
	ds_read_b128 v[172:175], v197 offset:9504
	ds_read_b128 v[192:195], v197 offset:11616
	ds_read_b128 v[168:171], v197 offset:13376
	ds_read_b128 v[180:183], v197 offset:15488
	ds_read_b128 v[164:167], v197 offset:17248
	s_and_saveexec_b64 s[4:5], s[2:3]
	s_cbranch_execz .LBB0_19
; %bb.18:
	ds_read_b128 v[108:111], v197 offset:3520
	ds_read_b128 v[152:155], v197 offset:7392
	;; [unrolled: 1-line block ×5, first 2 shown]
.LBB0_19:
	s_or_b64 exec, exec, s[4:5]
	s_waitcnt lgkmcnt(7)
	v_mul_f64 v[202:203], v[42:43], v[186:187]
	s_waitcnt lgkmcnt(5)
	v_mul_f64 v[211:212], v[54:55], v[190:191]
	;; [unrolled: 2-line block ×3, first 2 shown]
	v_mul_f64 v[204:205], v[42:43], v[184:185]
	v_mul_f64 v[213:214], v[54:55], v[188:189]
	;; [unrolled: 1-line block ×3, first 2 shown]
	s_waitcnt lgkmcnt(1)
	v_mul_f64 v[219:220], v[46:47], v[182:183]
	v_mul_f64 v[221:222], v[46:47], v[180:181]
	v_fma_f64 v[184:185], v[40:41], v[184:185], v[202:203]
	v_fma_f64 v[188:189], v[52:53], v[188:189], v[211:212]
	;; [unrolled: 1-line block ×3, first 2 shown]
	v_fma_f64 v[186:187], v[40:41], v[186:187], -v[204:205]
	v_fma_f64 v[190:191], v[52:53], v[190:191], -v[213:214]
	;; [unrolled: 1-line block ×3, first 2 shown]
	v_mul_f64 v[202:203], v[42:43], v[178:179]
	v_fma_f64 v[180:181], v[44:45], v[180:181], v[219:220]
	v_fma_f64 v[182:183], v[44:45], v[182:183], -v[221:222]
	v_mul_f64 v[204:205], v[42:43], v[176:177]
	v_mul_f64 v[211:212], v[54:55], v[174:175]
	v_add_f64 v[213:214], v[160:161], v[184:185]
	v_mul_f64 v[215:216], v[54:55], v[172:173]
	v_add_f64 v[217:218], v[188:189], v[192:193]
	v_mul_f64 v[219:220], v[50:51], v[168:169]
	v_fma_f64 v[202:203], v[40:41], v[176:177], v[202:203]
	v_mul_f64 v[176:177], v[50:51], v[170:171]
	v_fma_f64 v[204:205], v[40:41], v[178:179], -v[204:205]
	v_fma_f64 v[211:212], v[52:53], v[172:173], v[211:212]
	v_add_f64 v[172:173], v[213:214], v[188:189]
	v_fma_f64 v[213:214], v[52:53], v[174:175], -v[215:216]
	v_fma_f64 v[174:175], v[217:218], -0.5, v[160:161]
	v_add_f64 v[178:179], v[186:187], -v[182:183]
	v_fma_f64 v[217:218], v[48:49], v[170:171], -v[219:220]
	s_waitcnt lgkmcnt(0)
	v_mul_f64 v[170:171], v[46:47], v[164:165]
	v_add_f64 v[225:226], v[184:185], v[180:181]
	s_mov_b32 s4, 0x134454ff
	s_mov_b32 s5, 0xbfee6f0e
	;; [unrolled: 1-line block ×4, first 2 shown]
	v_fma_f64 v[215:216], v[48:49], v[168:169], v[176:177]
	v_mul_f64 v[168:169], v[46:47], v[166:167]
	v_add_f64 v[172:173], v[172:173], v[192:193]
	v_fma_f64 v[176:177], v[178:179], s[4:5], v[174:175]
	v_add_f64 v[219:220], v[190:191], -v[194:195]
	v_add_f64 v[221:222], v[184:185], -v[188:189]
	;; [unrolled: 1-line block ×3, first 2 shown]
	v_fma_f64 v[229:230], v[44:45], v[166:167], -v[170:171]
	v_fma_f64 v[160:161], v[225:226], -0.5, v[160:161]
	v_fma_f64 v[170:171], v[178:179], s[18:19], v[174:175]
	s_mov_b32 s14, 0x4755a5e
	s_mov_b32 s15, 0xbfe2cf23
	;; [unrolled: 1-line block ×4, first 2 shown]
	v_fma_f64 v[227:228], v[44:45], v[164:165], v[168:169]
	v_add_f64 v[164:165], v[172:173], v[180:181]
	v_fma_f64 v[166:167], v[219:220], s[14:15], v[176:177]
	v_add_f64 v[168:169], v[221:222], v[223:224]
	v_add_f64 v[172:173], v[162:163], v[186:187]
	;; [unrolled: 1-line block ×3, first 2 shown]
	v_fma_f64 v[176:177], v[219:220], s[18:19], v[160:161]
	v_fma_f64 v[170:171], v[219:220], s[16:17], v[170:171]
	;; [unrolled: 1-line block ×3, first 2 shown]
	s_mov_b32 s6, 0x372fe950
	s_mov_b32 s7, 0x3fd3c6ef
	v_add_f64 v[221:222], v[188:189], -v[184:185]
	v_add_f64 v[223:224], v[192:193], -v[180:181]
	v_add_f64 v[172:173], v[172:173], v[190:191]
	v_fma_f64 v[174:175], v[174:175], -0.5, v[162:163]
	v_add_f64 v[180:181], v[184:185], -v[180:181]
	v_fma_f64 v[176:177], v[178:179], s[14:15], v[176:177]
	v_fma_f64 v[160:161], v[168:169], s[6:7], v[166:167]
	;; [unrolled: 1-line block ×3, first 2 shown]
	v_add_f64 v[178:179], v[186:187], v[182:183]
	v_add_f64 v[184:185], v[221:222], v[223:224]
	v_fma_f64 v[168:169], v[168:169], s[6:7], v[170:171]
	v_add_f64 v[170:171], v[172:173], v[194:195]
	v_fma_f64 v[219:220], v[180:181], s[18:19], v[174:175]
	v_add_f64 v[188:189], v[188:189], -v[192:193]
	v_add_f64 v[192:193], v[211:212], v[215:216]
	v_add_f64 v[221:222], v[186:187], -v[190:191]
	v_add_f64 v[223:224], v[182:183], -v[194:195]
	v_fma_f64 v[162:163], v[178:179], -0.5, v[162:163]
	v_fma_f64 v[172:173], v[184:185], s[6:7], v[176:177]
	v_fma_f64 v[176:177], v[184:185], s[6:7], v[166:167]
	v_add_f64 v[166:167], v[170:171], v[182:183]
	v_fma_f64 v[170:171], v[188:189], s[16:17], v[219:220]
	v_add_f64 v[178:179], v[156:157], v[202:203]
	v_fma_f64 v[184:185], v[192:193], -0.5, v[156:157]
	v_add_f64 v[192:193], v[204:205], -v[229:230]
	v_add_f64 v[219:220], v[221:222], v[223:224]
	v_fma_f64 v[174:175], v[180:181], s[4:5], v[174:175]
	v_fma_f64 v[221:222], v[188:189], s[4:5], v[162:163]
	v_add_f64 v[186:187], v[190:191], -v[186:187]
	v_add_f64 v[182:183], v[194:195], -v[182:183]
	v_fma_f64 v[162:163], v[188:189], s[18:19], v[162:163]
	v_add_f64 v[178:179], v[178:179], v[211:212]
	v_fma_f64 v[190:191], v[192:193], s[4:5], v[184:185]
	v_add_f64 v[194:195], v[213:214], -v[217:218]
	v_add_f64 v[223:224], v[202:203], -v[211:212]
	;; [unrolled: 1-line block ×3, first 2 shown]
	v_fma_f64 v[174:175], v[188:189], s[14:15], v[174:175]
	v_fma_f64 v[221:222], v[180:181], s[16:17], v[221:222]
	v_add_f64 v[182:183], v[186:187], v[182:183]
	v_fma_f64 v[180:181], v[180:181], s[14:15], v[162:163]
	v_add_f64 v[188:189], v[202:203], v[227:228]
	v_add_f64 v[186:187], v[178:179], v[215:216]
	v_fma_f64 v[190:191], v[194:195], s[14:15], v[190:191]
	v_add_f64 v[223:224], v[223:224], v[225:226]
	v_fma_f64 v[162:163], v[219:220], s[6:7], v[170:171]
	v_fma_f64 v[170:171], v[219:220], s[6:7], v[174:175]
	;; [unrolled: 1-line block ×4, first 2 shown]
	v_add_f64 v[182:183], v[213:214], v[217:218]
	v_add_f64 v[219:220], v[204:205], v[229:230]
	v_fma_f64 v[188:189], v[188:189], -0.5, v[156:157]
	v_fma_f64 v[184:185], v[192:193], s[18:19], v[184:185]
	v_add_f64 v[225:226], v[158:159], v[204:205]
	v_fma_f64 v[180:181], v[223:224], s[6:7], v[190:191]
	v_add_f64 v[190:191], v[211:212], -v[202:203]
	v_add_f64 v[221:222], v[215:216], -v[227:228]
	v_fma_f64 v[182:183], v[182:183], -0.5, v[158:159]
	v_add_f64 v[202:203], v[202:203], -v[227:228]
	v_add_f64 v[211:212], v[211:212], -v[215:216]
	v_fma_f64 v[158:159], v[219:220], -0.5, v[158:159]
	v_add_f64 v[156:157], v[186:187], v[227:228]
	v_fma_f64 v[186:187], v[194:195], s[18:19], v[188:189]
	v_fma_f64 v[184:185], v[194:195], s[16:17], v[184:185]
	v_fma_f64 v[188:189], v[194:195], s[4:5], v[188:189]
	v_add_f64 v[194:195], v[225:226], v[213:214]
	v_add_f64 v[190:191], v[190:191], v[221:222]
	v_fma_f64 v[215:216], v[202:203], s[18:19], v[182:183]
	v_add_f64 v[219:220], v[204:205], -v[213:214]
	v_add_f64 v[221:222], v[229:230], -v[217:218]
	v_fma_f64 v[225:226], v[211:212], s[4:5], v[158:159]
	v_add_f64 v[204:205], v[213:214], -v[204:205]
	v_add_f64 v[213:214], v[217:218], -v[229:230]
	v_fma_f64 v[182:183], v[202:203], s[4:5], v[182:183]
	v_fma_f64 v[158:159], v[211:212], s[18:19], v[158:159]
	v_add_f64 v[194:195], v[194:195], v[217:218]
	v_fma_f64 v[215:216], v[211:212], s[16:17], v[215:216]
	v_add_f64 v[217:218], v[219:220], v[221:222]
	v_fma_f64 v[186:187], v[192:193], s[14:15], v[186:187]
	v_fma_f64 v[192:193], v[192:193], s[16:17], v[188:189]
	;; [unrolled: 1-line block ×3, first 2 shown]
	v_add_f64 v[204:205], v[204:205], v[213:214]
	v_fma_f64 v[211:212], v[211:212], s[14:15], v[182:183]
	v_fma_f64 v[202:203], v[202:203], s[14:15], v[158:159]
	v_add_f64 v[158:159], v[194:195], v[229:230]
	v_fma_f64 v[182:183], v[217:218], s[6:7], v[215:216]
	v_fma_f64 v[188:189], v[190:191], s[6:7], v[186:187]
	;; [unrolled: 1-line block ×7, first 2 shown]
	s_barrier
	ds_write_b128 v208, v[164:167]
	ds_write_b128 v208, v[160:163] offset:32
	ds_write_b128 v208, v[172:175] offset:64
	;; [unrolled: 1-line block ×4, first 2 shown]
	ds_write_b128 v209, v[156:159]
	ds_write_b128 v209, v[180:183] offset:32
	ds_write_b128 v209, v[188:191] offset:64
	;; [unrolled: 1-line block ×4, first 2 shown]
	s_and_saveexec_b64 s[20:21], s[2:3]
	s_cbranch_execz .LBB0_21
; %bb.20:
	v_mul_f64 v[158:159], v[42:43], v[152:153]
	v_mul_f64 v[160:161], v[46:47], v[88:89]
	;; [unrolled: 1-line block ×8, first 2 shown]
	v_fma_f64 v[154:155], v[40:41], v[154:155], -v[158:159]
	v_fma_f64 v[90:91], v[44:45], v[90:91], -v[160:161]
	;; [unrolled: 1-line block ×4, first 2 shown]
	v_fma_f64 v[52:53], v[52:53], v[76:77], v[54:55]
	v_fma_f64 v[48:49], v[48:49], v[84:85], v[50:51]
	;; [unrolled: 1-line block ×4, first 2 shown]
	v_add_f64 v[156:157], v[110:111], v[154:155]
	v_add_f64 v[42:43], v[154:155], v[90:91]
	v_add_f64 v[46:47], v[78:79], -v[154:155]
	v_add_f64 v[84:85], v[78:79], v[86:87]
	v_add_f64 v[50:51], v[86:87], -v[90:91]
	v_add_f64 v[54:55], v[52:53], -v[48:49]
	v_add_f64 v[166:167], v[52:53], v[48:49]
	v_add_f64 v[76:77], v[40:41], -v[44:45]
	v_add_f64 v[168:169], v[108:109], v[40:41]
	v_fma_f64 v[42:43], v[42:43], -0.5, v[110:111]
	v_add_f64 v[88:89], v[154:155], -v[78:79]
	v_fma_f64 v[84:85], v[84:85], -0.5, v[110:111]
	v_add_f64 v[110:111], v[40:41], v[44:45]
	v_add_f64 v[46:47], v[46:47], v[50:51]
	v_add_f64 v[154:155], v[154:155], -v[90:91]
	v_add_f64 v[152:153], v[90:91], -v[86:87]
	;; [unrolled: 1-line block ×3, first 2 shown]
	v_fma_f64 v[162:163], v[54:55], s[18:19], v[42:43]
	v_fma_f64 v[42:43], v[54:55], s[4:5], v[42:43]
	;; [unrolled: 1-line block ×4, first 2 shown]
	v_fma_f64 v[110:111], v[110:111], -0.5, v[108:109]
	v_fma_f64 v[108:109], v[166:167], -0.5, v[108:109]
	v_add_f64 v[158:159], v[52:53], -v[40:41]
	v_add_f64 v[78:79], v[156:157], v[78:79]
	v_fma_f64 v[162:163], v[76:77], s[14:15], v[162:163]
	v_fma_f64 v[76:77], v[76:77], s[16:17], v[42:43]
	v_add_f64 v[40:41], v[40:41], -v[52:53]
	v_add_f64 v[52:53], v[168:169], v[52:53]
	v_fma_f64 v[50:51], v[54:55], s[14:15], v[50:51]
	v_fma_f64 v[54:55], v[54:55], s[16:17], v[84:85]
	;; [unrolled: 1-line block ×3, first 2 shown]
	v_add_f64 v[160:161], v[48:49], -v[44:45]
	v_fma_f64 v[42:43], v[46:47], s[6:7], v[162:163]
	v_fma_f64 v[46:47], v[46:47], s[6:7], v[76:77]
	v_add_f64 v[76:77], v[44:45], -v[48:49]
	v_add_f64 v[88:89], v[88:89], v[152:153]
	v_fma_f64 v[152:153], v[164:165], s[18:19], v[110:111]
	v_fma_f64 v[110:111], v[164:165], s[4:5], v[110:111]
	;; [unrolled: 1-line block ×3, first 2 shown]
	v_add_f64 v[78:79], v[78:79], v[86:87]
	v_add_f64 v[86:87], v[158:159], v[160:161]
	;; [unrolled: 1-line block ×4, first 2 shown]
	v_fma_f64 v[48:49], v[164:165], s[14:15], v[84:85]
	v_fma_f64 v[84:85], v[154:155], s[14:15], v[152:153]
	;; [unrolled: 1-line block ×4, first 2 shown]
	v_add_f64 v[78:79], v[78:79], v[90:91]
	v_fma_f64 v[54:55], v[88:89], s[6:7], v[54:55]
	v_fma_f64 v[50:51], v[88:89], s[6:7], v[50:51]
	v_add_f64 v[76:77], v[40:41], v[44:45]
	v_fma_f64 v[52:53], v[156:157], s[6:7], v[48:49]
	v_fma_f64 v[44:45], v[86:87], s[6:7], v[84:85]
	;; [unrolled: 1-line block ×4, first 2 shown]
	v_mul_u32_u24_e32 v84, 10, v206
	v_or_b32_e32 v84, v84, v201
	v_lshlrev_b32_e32 v84, 4, v84
	ds_write_b128 v84, v[76:79]
	ds_write_b128 v84, v[52:55] offset:32
	ds_write_b128 v84, v[44:47] offset:64
	;; [unrolled: 1-line block ×4, first 2 shown]
.LBB0_21:
	s_or_b64 exec, exec, s[20:21]
	s_waitcnt lgkmcnt(0)
	s_barrier
	ds_read_b128 v[40:43], v197 offset:1760
	ds_read_b128 v[44:47], v197 offset:3520
	;; [unrolled: 1-line block ×3, first 2 shown]
	s_mov_b32 s14, 0xf8bb580b
	s_mov_b32 s2, 0x8eee2c13
	s_waitcnt lgkmcnt(2)
	v_mul_f64 v[52:53], v[94:95], v[42:43]
	v_mul_f64 v[54:55], v[94:95], v[40:41]
	s_waitcnt lgkmcnt(1)
	v_mul_f64 v[76:77], v[82:83], v[46:47]
	v_mul_f64 v[78:79], v[82:83], v[44:45]
	s_mov_b32 s18, 0x43842ef
	s_mov_b32 s26, 0xbb3a28a1
	;; [unrolled: 1-line block ×4, first 2 shown]
	v_fma_f64 v[82:83], v[92:93], v[40:41], v[52:53]
	v_fma_f64 v[84:85], v[92:93], v[42:43], -v[54:55]
	ds_read_b128 v[52:55], v197
	s_waitcnt lgkmcnt(1)
	v_mul_f64 v[86:87], v[70:71], v[50:51]
	v_mul_f64 v[70:71], v[70:71], v[48:49]
	v_fma_f64 v[88:89], v[80:81], v[44:45], v[76:77]
	v_fma_f64 v[80:81], v[80:81], v[46:47], -v[78:79]
	ds_read_b128 v[40:43], v197 offset:7040
	ds_read_b128 v[44:47], v197 offset:8800
	s_waitcnt lgkmcnt(2)
	v_add_f64 v[76:77], v[52:53], v[82:83]
	v_add_f64 v[78:79], v[54:55], v[84:85]
	v_fma_f64 v[86:87], v[68:69], v[48:49], v[86:87]
	s_waitcnt lgkmcnt(1)
	v_mul_f64 v[90:91], v[62:63], v[42:43]
	v_mul_f64 v[62:63], v[62:63], v[40:41]
	v_fma_f64 v[92:93], v[68:69], v[50:51], -v[70:71]
	s_waitcnt lgkmcnt(0)
	v_mul_f64 v[94:95], v[102:103], v[46:47]
	v_mul_f64 v[102:103], v[102:103], v[44:45]
	v_add_f64 v[76:77], v[76:77], v[88:89]
	v_add_f64 v[78:79], v[78:79], v[80:81]
	ds_read_b128 v[48:51], v197 offset:10560
	ds_read_b128 v[68:71], v197 offset:12320
	v_fma_f64 v[90:91], v[60:61], v[40:41], v[90:91]
	v_fma_f64 v[108:109], v[60:61], v[42:43], -v[62:63]
	s_mov_b32 s3, 0xbfed1bb4
	s_waitcnt lgkmcnt(1)
	v_mul_f64 v[154:155], v[74:75], v[50:51]
	v_mul_f64 v[74:75], v[74:75], v[48:49]
	v_add_f64 v[110:111], v[76:77], v[86:87]
	v_add_f64 v[152:153], v[78:79], v[92:93]
	v_fma_f64 v[44:45], v[100:101], v[44:45], v[94:95]
	v_fma_f64 v[46:47], v[100:101], v[46:47], -v[102:103]
	ds_read_b128 v[40:43], v197 offset:14080
	ds_read_b128 v[60:63], v197 offset:15840
	;; [unrolled: 1-line block ×3, first 2 shown]
	s_waitcnt lgkmcnt(3)
	v_mul_f64 v[102:103], v[66:67], v[70:71]
	v_mul_f64 v[66:67], v[66:67], v[68:69]
	v_fma_f64 v[48:49], v[72:73], v[48:49], v[154:155]
	v_add_f64 v[94:95], v[110:111], v[90:91]
	v_add_f64 v[100:101], v[152:153], v[108:109]
	v_fma_f64 v[50:51], v[72:73], v[50:51], -v[74:75]
	s_mov_b32 s19, 0xbfefac9e
	s_mov_b32 s27, 0xbfe82f19
	v_fma_f64 v[68:69], v[64:65], v[68:69], v[102:103]
	v_fma_f64 v[64:65], v[64:65], v[70:71], -v[66:67]
	s_mov_b32 s35, 0xbfd207e7
	v_add_f64 v[72:73], v[94:95], v[44:45]
	v_add_f64 v[74:75], v[100:101], v[46:47]
	s_waitcnt lgkmcnt(0)
	v_mul_f64 v[94:95], v[98:99], v[76:77]
	v_mul_f64 v[100:101], v[58:59], v[42:43]
	;; [unrolled: 1-line block ×3, first 2 shown]
	s_mov_b32 s6, 0x8764f0ba
	s_mov_b32 s4, 0xd9c712b6
	;; [unrolled: 1-line block ×3, first 2 shown]
	v_add_f64 v[66:67], v[72:73], v[48:49]
	v_add_f64 v[70:71], v[74:75], v[50:51]
	v_mul_f64 v[72:73], v[98:99], v[78:79]
	v_fma_f64 v[74:75], v[96:97], v[78:79], -v[94:95]
	v_mul_f64 v[78:79], v[106:107], v[62:63]
	v_mul_f64 v[94:95], v[106:107], v[60:61]
	v_fma_f64 v[98:99], v[56:57], v[40:41], v[100:101]
	v_fma_f64 v[56:57], v[56:57], v[42:43], -v[58:59]
	v_add_f64 v[40:41], v[66:67], v[68:69]
	v_add_f64 v[42:43], v[70:71], v[64:65]
	v_fma_f64 v[58:59], v[96:97], v[76:77], v[72:73]
	v_add_f64 v[66:67], v[84:85], -v[74:75]
	v_fma_f64 v[60:61], v[104:105], v[60:61], v[78:79]
	v_fma_f64 v[62:63], v[104:105], v[62:63], -v[94:95]
	v_add_f64 v[70:71], v[84:85], v[74:75]
	s_mov_b32 s28, 0x7f775887
	v_add_f64 v[40:41], v[40:41], v[98:99]
	v_add_f64 v[42:43], v[42:43], v[56:57]
	;; [unrolled: 1-line block ×3, first 2 shown]
	v_mul_f64 v[76:77], v[66:67], s[14:15]
	v_mul_f64 v[94:95], v[66:67], s[2:3]
	;; [unrolled: 1-line block ×5, first 2 shown]
	s_mov_b32 s36, 0x9bcd5057
	s_mov_b32 s7, 0x3feaeb8c
	;; [unrolled: 1-line block ×6, first 2 shown]
	v_add_f64 v[78:79], v[82:83], -v[58:59]
	v_mul_f64 v[82:83], v[70:71], s[6:7]
	v_add_f64 v[40:41], v[40:41], v[60:61]
	v_add_f64 v[42:43], v[42:43], v[62:63]
	v_fma_f64 v[84:85], v[72:73], s[6:7], v[76:77]
	v_mul_f64 v[96:97], v[70:71], s[4:5]
	v_mul_f64 v[106:107], v[70:71], s[22:23]
	;; [unrolled: 1-line block ×4, first 2 shown]
	v_add_f64 v[160:161], v[80:81], -v[62:63]
	v_add_f64 v[62:63], v[80:81], v[62:63]
	v_fma_f64 v[80:81], v[72:73], s[36:37], v[66:67]
	s_mov_b32 s21, 0x3fe14ced
	s_mov_b32 s20, s14
	;; [unrolled: 1-line block ×9, first 2 shown]
	v_fma_f64 v[100:101], v[78:79], s[20:21], v[82:83]
	v_add_f64 v[40:41], v[40:41], v[58:59]
	v_add_f64 v[42:43], v[42:43], v[74:75]
	v_fma_f64 v[58:59], v[72:73], s[6:7], -v[76:77]
	v_add_f64 v[74:75], v[52:53], v[84:85]
	v_fma_f64 v[76:77], v[78:79], s[14:15], v[82:83]
	v_fma_f64 v[82:83], v[72:73], s[4:5], v[94:95]
	v_fma_f64 v[84:85], v[78:79], s[16:17], v[96:97]
	v_fma_f64 v[94:95], v[72:73], s[4:5], -v[94:95]
	v_fma_f64 v[96:97], v[78:79], s[2:3], v[96:97]
	v_fma_f64 v[104:105], v[72:73], s[22:23], v[102:103]
	v_fma_f64 v[154:155], v[78:79], s[24:25], v[106:107]
	v_fma_f64 v[102:103], v[72:73], s[22:23], -v[102:103]
	;; [unrolled: 4-line block ×3, first 2 shown]
	v_fma_f64 v[152:153], v[78:79], s[26:27], v[152:153]
	v_fma_f64 v[162:163], v[78:79], s[38:39], v[70:71]
	v_add_f64 v[164:165], v[88:89], v[60:61]
	v_add_f64 v[60:61], v[88:89], -v[60:61]
	v_mul_f64 v[88:89], v[160:161], s[2:3]
	v_mul_f64 v[166:167], v[62:63], s[4:5]
	v_fma_f64 v[66:67], v[72:73], s[36:37], -v[66:67]
	v_fma_f64 v[70:71], v[78:79], s[34:35], v[70:71]
	v_add_f64 v[72:73], v[52:53], v[80:81]
	v_mul_f64 v[80:81], v[160:161], s[26:27]
	v_add_f64 v[100:101], v[54:55], v[100:101]
	v_add_f64 v[58:59], v[52:53], v[58:59]
	;; [unrolled: 1-line block ×16, first 2 shown]
	v_mul_f64 v[162:163], v[62:63], s[28:29]
	v_fma_f64 v[168:169], v[164:165], s[4:5], v[88:89]
	v_fma_f64 v[170:171], v[60:61], s[16:17], v[166:167]
	v_add_f64 v[52:53], v[52:53], v[66:67]
	v_add_f64 v[54:55], v[54:55], v[70:71]
	v_fma_f64 v[66:67], v[164:165], s[4:5], -v[88:89]
	v_fma_f64 v[70:71], v[60:61], s[2:3], v[166:167]
	v_fma_f64 v[88:89], v[164:165], s[28:29], v[80:81]
	;; [unrolled: 1-line block ×3, first 2 shown]
	v_add_f64 v[74:75], v[168:169], v[74:75]
	v_add_f64 v[100:101], v[170:171], v[100:101]
	v_mul_f64 v[168:169], v[160:161], s[38:39]
	v_mul_f64 v[170:171], v[62:63], s[36:37]
	v_add_f64 v[58:59], v[66:67], v[58:59]
	v_add_f64 v[66:67], v[70:71], v[76:77]
	v_add_f64 v[70:71], v[88:89], v[82:83]
	v_fma_f64 v[80:81], v[164:165], s[28:29], -v[80:81]
	v_fma_f64 v[82:83], v[60:61], s[26:27], v[162:163]
	v_mul_f64 v[162:163], v[160:161], s[24:25]
	v_add_f64 v[76:77], v[166:167], v[84:85]
	v_fma_f64 v[84:85], v[164:165], s[36:37], v[168:169]
	v_fma_f64 v[88:89], v[60:61], s[34:35], v[170:171]
	v_mul_f64 v[166:167], v[62:63], s[22:23]
	v_fma_f64 v[170:171], v[60:61], s[38:39], v[170:171]
	v_add_f64 v[80:81], v[80:81], v[94:95]
	v_mul_f64 v[160:161], v[160:161], s[20:21]
	v_fma_f64 v[94:95], v[164:165], s[22:23], v[162:163]
	v_mul_f64 v[62:63], v[62:63], s[6:7]
	v_add_f64 v[84:85], v[84:85], v[104:105]
	v_add_f64 v[88:89], v[88:89], v[154:155]
	v_fma_f64 v[154:155], v[60:61], s[24:25], v[166:167]
	v_add_f64 v[104:105], v[170:171], v[106:107]
	v_fma_f64 v[106:107], v[164:165], s[22:23], -v[162:163]
	v_add_f64 v[82:83], v[82:83], v[96:97]
	v_add_f64 v[94:95], v[94:95], v[156:157]
	v_add_f64 v[156:157], v[92:93], -v[56:57]
	v_fma_f64 v[96:97], v[60:61], s[18:19], v[166:167]
	v_add_f64 v[56:57], v[92:93], v[56:57]
	v_fma_f64 v[168:169], v[164:165], s[36:37], -v[168:169]
	v_add_f64 v[92:93], v[106:107], v[110:111]
	v_add_f64 v[106:107], v[154:155], v[152:153]
	v_fma_f64 v[110:111], v[164:165], s[6:7], v[160:161]
	v_fma_f64 v[152:153], v[60:61], s[14:15], v[62:63]
	v_add_f64 v[154:155], v[86:87], v[98:99]
	v_add_f64 v[86:87], v[86:87], -v[98:99]
	v_mul_f64 v[98:99], v[156:157], s[18:19]
	v_add_f64 v[96:97], v[96:97], v[158:159]
	v_mul_f64 v[158:159], v[56:57], s[22:23]
	v_fma_f64 v[160:161], v[164:165], s[6:7], -v[160:161]
	v_fma_f64 v[60:61], v[60:61], s[20:21], v[62:63]
	v_add_f64 v[62:63], v[110:111], v[72:73]
	v_add_f64 v[72:73], v[152:153], v[78:79]
	v_mul_f64 v[78:79], v[156:157], s[38:39]
	v_mul_f64 v[110:111], v[56:57], s[36:37]
	v_fma_f64 v[152:153], v[154:155], s[22:23], v[98:99]
	v_fma_f64 v[162:163], v[86:87], s[24:25], v[158:159]
	v_add_f64 v[52:53], v[160:161], v[52:53]
	v_add_f64 v[54:55], v[60:61], v[54:55]
	v_fma_f64 v[60:61], v[154:155], s[22:23], -v[98:99]
	v_fma_f64 v[98:99], v[86:87], s[18:19], v[158:159]
	v_fma_f64 v[158:159], v[154:155], s[36:37], v[78:79]
	;; [unrolled: 1-line block ×3, first 2 shown]
	v_add_f64 v[74:75], v[152:153], v[74:75]
	v_mul_f64 v[152:153], v[156:157], s[16:17]
	v_add_f64 v[100:101], v[162:163], v[100:101]
	v_mul_f64 v[162:163], v[56:57], s[4:5]
	v_add_f64 v[58:59], v[60:61], v[58:59]
	v_add_f64 v[60:61], v[98:99], v[66:67]
	;; [unrolled: 1-line block ×4, first 2 shown]
	v_fma_f64 v[76:77], v[154:155], s[36:37], -v[78:79]
	v_fma_f64 v[98:99], v[154:155], s[4:5], v[152:153]
	v_mul_f64 v[158:159], v[156:157], s[14:15]
	v_fma_f64 v[78:79], v[86:87], s[38:39], v[110:111]
	v_fma_f64 v[110:111], v[86:87], s[2:3], v[162:163]
	v_add_f64 v[102:103], v[168:169], v[102:103]
	v_mul_f64 v[160:161], v[56:57], s[6:7]
	v_fma_f64 v[152:153], v[154:155], s[4:5], -v[152:153]
	v_add_f64 v[76:77], v[76:77], v[80:81]
	v_add_f64 v[80:81], v[98:99], v[84:85]
	v_fma_f64 v[84:85], v[154:155], s[6:7], v[158:159]
	v_fma_f64 v[162:163], v[86:87], s[16:17], v[162:163]
	v_add_f64 v[78:79], v[78:79], v[82:83]
	v_add_f64 v[82:83], v[110:111], v[88:89]
	v_mul_f64 v[56:57], v[56:57], s[28:29]
	v_fma_f64 v[110:111], v[154:155], s[6:7], -v[158:159]
	v_fma_f64 v[88:89], v[86:87], s[20:21], v[160:161]
	v_add_f64 v[98:99], v[152:153], v[102:103]
	v_add_f64 v[84:85], v[84:85], v[94:95]
	v_add_f64 v[94:95], v[108:109], -v[64:65]
	v_add_f64 v[102:103], v[162:163], v[104:105]
	v_mul_f64 v[104:105], v[156:157], s[26:27]
	v_fma_f64 v[152:153], v[86:87], s[14:15], v[160:161]
	v_add_f64 v[64:65], v[108:109], v[64:65]
	v_fma_f64 v[108:109], v[86:87], s[30:31], v[56:57]
	v_add_f64 v[92:93], v[110:111], v[92:93]
	v_add_f64 v[110:111], v[90:91], v[68:69]
	v_add_f64 v[68:69], v[90:91], -v[68:69]
	v_mul_f64 v[90:91], v[94:95], s[26:27]
	v_add_f64 v[88:89], v[88:89], v[96:97]
	v_fma_f64 v[96:97], v[154:155], s[28:29], v[104:105]
	v_add_f64 v[106:107], v[152:153], v[106:107]
	v_mul_f64 v[152:153], v[64:65], s[28:29]
	v_add_f64 v[72:73], v[108:109], v[72:73]
	v_fma_f64 v[56:57], v[86:87], s[26:27], v[56:57]
	v_mul_f64 v[86:87], v[94:95], s[24:25]
	v_fma_f64 v[108:109], v[110:111], s[28:29], v[90:91]
	v_fma_f64 v[90:91], v[110:111], s[28:29], -v[90:91]
	v_add_f64 v[62:63], v[96:97], v[62:63]
	v_fma_f64 v[96:97], v[154:155], s[28:29], -v[104:105]
	v_mul_f64 v[104:105], v[64:65], s[22:23]
	v_fma_f64 v[154:155], v[68:69], s[30:31], v[152:153]
	v_fma_f64 v[152:153], v[68:69], s[26:27], v[152:153]
	v_add_f64 v[54:55], v[56:57], v[54:55]
	v_add_f64 v[74:75], v[108:109], v[74:75]
	;; [unrolled: 1-line block ×3, first 2 shown]
	v_mul_f64 v[90:91], v[94:95], s[14:15]
	v_mul_f64 v[108:109], v[64:65], s[6:7]
	v_add_f64 v[52:53], v[96:97], v[52:53]
	v_fma_f64 v[56:57], v[110:111], s[22:23], v[86:87]
	v_fma_f64 v[96:97], v[68:69], s[18:19], v[104:105]
	v_add_f64 v[100:101], v[154:155], v[100:101]
	v_add_f64 v[60:61], v[152:153], v[60:61]
	v_fma_f64 v[86:87], v[110:111], s[22:23], -v[86:87]
	v_fma_f64 v[152:153], v[110:111], s[6:7], v[90:91]
	v_fma_f64 v[154:155], v[68:69], s[20:21], v[108:109]
	v_fma_f64 v[90:91], v[110:111], s[6:7], -v[90:91]
	v_fma_f64 v[108:109], v[68:69], s[14:15], v[108:109]
	v_add_f64 v[56:57], v[56:57], v[66:67]
	v_add_f64 v[66:67], v[96:97], v[70:71]
	v_mul_f64 v[70:71], v[94:95], s[34:35]
	v_mul_f64 v[96:97], v[64:65], s[36:37]
	v_fma_f64 v[104:105], v[68:69], s[24:25], v[104:105]
	v_add_f64 v[76:77], v[86:87], v[76:77]
	v_add_f64 v[86:87], v[90:91], v[98:99]
	;; [unrolled: 1-line block ×4, first 2 shown]
	v_add_f64 v[98:99], v[46:47], -v[50:51]
	v_mul_f64 v[46:47], v[94:95], s[16:17]
	v_fma_f64 v[156:157], v[110:111], s[36:37], v[70:71]
	v_fma_f64 v[158:159], v[68:69], s[38:39], v[96:97]
	v_add_f64 v[78:79], v[104:105], v[78:79]
	v_mul_f64 v[50:51], v[64:65], s[4:5]
	v_fma_f64 v[64:65], v[110:111], s[36:37], -v[70:71]
	v_fma_f64 v[70:71], v[68:69], s[34:35], v[96:97]
	v_add_f64 v[96:97], v[44:45], -v[48:49]
	v_mul_f64 v[104:105], v[102:103], s[36:37]
	v_add_f64 v[94:95], v[44:45], v[48:49]
	v_mul_f64 v[48:49], v[98:99], s[34:35]
	v_fma_f64 v[44:45], v[110:111], s[4:5], v[46:47]
	v_fma_f64 v[108:109], v[68:69], s[2:3], v[50:51]
	v_fma_f64 v[46:47], v[110:111], s[4:5], -v[46:47]
	v_add_f64 v[106:107], v[70:71], v[106:107]
	v_fma_f64 v[50:51], v[68:69], s[16:17], v[50:51]
	v_fma_f64 v[68:69], v[96:97], s[38:39], v[104:105]
	v_mul_f64 v[70:71], v[102:103], s[6:7]
	v_add_f64 v[92:93], v[64:65], v[92:93]
	v_fma_f64 v[64:65], v[94:95], s[36:37], v[48:49]
	v_add_f64 v[110:111], v[44:45], v[62:63]
	v_mul_f64 v[62:63], v[98:99], s[20:21]
	v_add_f64 v[80:81], v[152:153], v[80:81]
	v_add_f64 v[82:83], v[154:155], v[82:83]
	;; [unrolled: 1-line block ×5, first 2 shown]
	v_fma_f64 v[48:49], v[94:95], s[36:37], -v[48:49]
	v_fma_f64 v[54:55], v[96:97], s[14:15], v[70:71]
	v_mul_f64 v[68:69], v[102:103], s[28:29]
	v_fma_f64 v[70:71], v[96:97], s[20:21], v[70:71]
	v_add_f64 v[44:45], v[64:65], v[74:75]
	v_fma_f64 v[50:51], v[96:97], s[34:35], v[104:105]
	v_fma_f64 v[52:53], v[94:95], s[6:7], v[62:63]
	v_mul_f64 v[64:65], v[98:99], s[26:27]
	v_fma_f64 v[62:63], v[94:95], s[6:7], -v[62:63]
	v_add_f64 v[108:109], v[108:109], v[72:73]
	v_add_f64 v[48:49], v[48:49], v[58:59]
	;; [unrolled: 1-line block ×3, first 2 shown]
	v_fma_f64 v[66:67], v[96:97], s[30:31], v[68:69]
	v_add_f64 v[58:59], v[70:71], v[78:79]
	v_fma_f64 v[68:69], v[96:97], s[26:27], v[68:69]
	v_mul_f64 v[70:71], v[98:99], s[16:17]
	v_mul_f64 v[72:73], v[102:103], s[4:5]
	v_add_f64 v[50:51], v[50:51], v[60:61]
	v_add_f64 v[52:53], v[52:53], v[56:57]
	v_fma_f64 v[60:61], v[94:95], s[28:29], v[64:65]
	v_add_f64 v[56:57], v[62:63], v[76:77]
	v_fma_f64 v[64:65], v[94:95], s[28:29], -v[64:65]
	v_mul_f64 v[74:75], v[98:99], s[18:19]
	v_mul_f64 v[76:77], v[102:103], s[22:23]
	v_add_f64 v[84:85], v[156:157], v[84:85]
	v_add_f64 v[88:89], v[158:159], v[88:89]
	;; [unrolled: 1-line block ×4, first 2 shown]
	v_fma_f64 v[68:69], v[94:95], s[4:5], v[70:71]
	v_fma_f64 v[78:79], v[96:97], s[2:3], v[72:73]
	v_add_f64 v[64:65], v[64:65], v[86:87]
	v_fma_f64 v[86:87], v[94:95], s[22:23], v[74:75]
	v_fma_f64 v[90:91], v[96:97], s[24:25], v[76:77]
	v_add_f64 v[60:61], v[60:61], v[80:81]
	v_fma_f64 v[80:81], v[94:95], s[4:5], -v[70:71]
	v_fma_f64 v[82:83], v[96:97], s[16:17], v[72:73]
	v_fma_f64 v[94:95], v[94:95], s[22:23], -v[74:75]
	v_fma_f64 v[96:97], v[96:97], s[18:19], v[76:77]
	v_add_f64 v[68:69], v[68:69], v[84:85]
	v_add_f64 v[70:71], v[78:79], v[88:89]
	;; [unrolled: 1-line block ×8, first 2 shown]
	s_barrier
	ds_write_b128 v210, v[40:43]
	ds_write_b128 v210, v[44:47] offset:160
	ds_write_b128 v210, v[52:55] offset:320
	;; [unrolled: 1-line block ×10, first 2 shown]
	s_waitcnt lgkmcnt(0)
	s_barrier
	ds_read_b128 v[40:43], v197 offset:1760
	ds_read_b128 v[44:47], v197 offset:3520
	;; [unrolled: 1-line block ×3, first 2 shown]
	s_waitcnt lgkmcnt(2)
	v_mul_f64 v[52:53], v[138:139], v[42:43]
	v_mul_f64 v[54:55], v[138:139], v[40:41]
	s_waitcnt lgkmcnt(1)
	v_mul_f64 v[56:57], v[134:135], v[46:47]
	v_mul_f64 v[58:59], v[134:135], v[44:45]
	v_fma_f64 v[64:65], v[136:137], v[40:41], v[52:53]
	v_fma_f64 v[66:67], v[136:137], v[42:43], -v[54:55]
	ds_read_b128 v[52:55], v197
	v_fma_f64 v[68:69], v[132:133], v[44:45], v[56:57]
	v_fma_f64 v[70:71], v[132:133], v[46:47], -v[58:59]
	s_waitcnt lgkmcnt(1)
	v_mul_f64 v[56:57], v[118:119], v[50:51]
	v_mul_f64 v[58:59], v[118:119], v[48:49]
	ds_read_b128 v[40:43], v197 offset:7040
	ds_read_b128 v[44:47], v197 offset:8800
	s_waitcnt lgkmcnt(2)
	v_add_f64 v[60:61], v[52:53], v[64:65]
	v_add_f64 v[62:63], v[54:55], v[66:67]
	s_waitcnt lgkmcnt(1)
	v_mul_f64 v[72:73], v[114:115], v[42:43]
	v_fma_f64 v[74:75], v[116:117], v[48:49], v[56:57]
	v_fma_f64 v[76:77], v[116:117], v[50:51], -v[58:59]
	v_mul_f64 v[48:49], v[114:115], v[40:41]
	s_waitcnt lgkmcnt(0)
	v_mul_f64 v[58:59], v[142:143], v[46:47]
	v_add_f64 v[50:51], v[60:61], v[68:69]
	v_add_f64 v[56:57], v[62:63], v[70:71]
	v_mul_f64 v[60:61], v[142:143], v[44:45]
	v_fma_f64 v[72:73], v[112:113], v[40:41], v[72:73]
	v_fma_f64 v[78:79], v[112:113], v[42:43], -v[48:49]
	v_fma_f64 v[80:81], v[140:141], v[44:45], v[58:59]
	v_add_f64 v[62:63], v[50:51], v[74:75]
	v_add_f64 v[56:57], v[56:57], v[76:77]
	ds_read_b128 v[40:43], v197 offset:10560
	ds_read_b128 v[48:51], v197 offset:12320
	v_fma_f64 v[82:83], v[140:141], v[46:47], -v[60:61]
	s_waitcnt lgkmcnt(1)
	v_mul_f64 v[84:85], v[130:131], v[42:43]
	v_mul_f64 v[86:87], v[130:131], v[40:41]
	v_add_f64 v[88:89], v[62:63], v[72:73]
	v_add_f64 v[90:91], v[56:57], v[78:79]
	ds_read_b128 v[44:47], v197 offset:14080
	ds_read_b128 v[56:59], v197 offset:15840
	;; [unrolled: 1-line block ×3, first 2 shown]
	s_waitcnt lgkmcnt(3)
	v_mul_f64 v[92:93], v[126:127], v[50:51]
	v_mul_f64 v[94:95], v[126:127], v[48:49]
	v_fma_f64 v[84:85], v[128:129], v[40:41], v[84:85]
	v_fma_f64 v[86:87], v[128:129], v[42:43], -v[86:87]
	v_add_f64 v[40:41], v[88:89], v[80:81]
	v_add_f64 v[42:43], v[90:91], v[82:83]
	s_waitcnt lgkmcnt(2)
	v_mul_f64 v[88:89], v[122:123], v[46:47]
	s_waitcnt lgkmcnt(0)
	v_mul_f64 v[90:91], v[146:147], v[60:61]
	v_fma_f64 v[48:49], v[124:125], v[48:49], v[92:93]
	v_fma_f64 v[50:51], v[124:125], v[50:51], -v[94:95]
	v_mul_f64 v[92:93], v[122:123], v[44:45]
	v_mul_f64 v[94:95], v[146:147], v[62:63]
	v_add_f64 v[40:41], v[40:41], v[84:85]
	v_add_f64 v[42:43], v[42:43], v[86:87]
	v_fma_f64 v[88:89], v[120:121], v[44:45], v[88:89]
	v_mul_f64 v[44:45], v[150:151], v[58:59]
	v_fma_f64 v[62:63], v[144:145], v[62:63], -v[90:91]
	v_mul_f64 v[96:97], v[150:151], v[56:57]
	v_fma_f64 v[46:47], v[120:121], v[46:47], -v[92:93]
	v_add_f64 v[40:41], v[40:41], v[48:49]
	v_add_f64 v[42:43], v[42:43], v[50:51]
	v_fma_f64 v[56:57], v[148:149], v[56:57], v[44:45]
	v_fma_f64 v[44:45], v[144:145], v[60:61], v[94:95]
	v_add_f64 v[60:61], v[66:67], -v[62:63]
	v_add_f64 v[66:67], v[66:67], v[62:63]
	v_fma_f64 v[58:59], v[148:149], v[58:59], -v[96:97]
	v_add_f64 v[40:41], v[40:41], v[88:89]
	v_add_f64 v[42:43], v[42:43], v[46:47]
	;; [unrolled: 1-line block ×4, first 2 shown]
	v_add_f64 v[64:65], v[64:65], -v[44:45]
	v_mul_f64 v[92:93], v[60:61], s[14:15]
	v_mul_f64 v[94:95], v[66:67], s[6:7]
	v_add_f64 v[96:97], v[40:41], v[56:57]
	v_add_f64 v[98:99], v[42:43], v[58:59]
	v_mul_f64 v[114:115], v[60:61], s[26:27]
	v_mul_f64 v[116:117], v[66:67], s[28:29]
	;; [unrolled: 1-line block ×4, first 2 shown]
	v_fma_f64 v[104:105], v[90:91], s[6:7], v[92:93]
	v_fma_f64 v[106:107], v[64:65], s[20:21], v[94:95]
	v_add_f64 v[42:43], v[96:97], v[44:45]
	v_add_f64 v[44:45], v[98:99], v[62:63]
	v_mul_f64 v[108:109], v[66:67], s[22:23]
	v_fma_f64 v[118:119], v[90:91], s[28:29], v[114:115]
	v_fma_f64 v[120:121], v[64:65], s[30:31], v[116:117]
	v_fma_f64 v[114:115], v[90:91], s[28:29], -v[114:115]
	v_add_f64 v[98:99], v[52:53], v[104:105]
	v_add_f64 v[104:105], v[54:55], v[106:107]
	v_mul_f64 v[106:107], v[60:61], s[18:19]
	v_fma_f64 v[116:117], v[64:65], s[26:27], v[116:117]
	v_mul_f64 v[60:61], v[60:61], s[34:35]
	v_mul_f64 v[66:67], v[66:67], s[36:37]
	v_add_f64 v[122:123], v[70:71], -v[58:59]
	v_add_f64 v[58:59], v[70:71], v[58:59]
	v_add_f64 v[70:71], v[52:53], v[114:115]
	v_add_f64 v[56:57], v[68:69], -v[56:57]
	v_fma_f64 v[62:63], v[90:91], s[6:7], -v[92:93]
	v_add_f64 v[114:115], v[54:55], v[116:117]
	v_fma_f64 v[116:117], v[90:91], s[36:37], v[60:61]
	v_fma_f64 v[124:125], v[64:65], s[38:39], v[66:67]
	;; [unrolled: 1-line block ×3, first 2 shown]
	v_mul_f64 v[128:129], v[58:59], s[4:5]
	v_fma_f64 v[94:95], v[90:91], s[4:5], v[100:101]
	v_fma_f64 v[96:97], v[64:65], s[16:17], v[102:103]
	v_fma_f64 v[100:101], v[90:91], s[4:5], -v[100:101]
	v_fma_f64 v[102:103], v[64:65], s[2:3], v[102:103]
	v_fma_f64 v[110:111], v[90:91], s[22:23], v[106:107]
	;; [unrolled: 1-line block ×3, first 2 shown]
	v_fma_f64 v[106:107], v[90:91], s[22:23], -v[106:107]
	v_fma_f64 v[108:109], v[64:65], s[18:19], v[108:109]
	v_mul_f64 v[68:69], v[122:123], s[2:3]
	v_fma_f64 v[60:61], v[90:91], s[36:37], -v[60:61]
	v_fma_f64 v[64:65], v[64:65], s[34:35], v[66:67]
	v_add_f64 v[66:67], v[52:53], v[116:117]
	v_add_f64 v[90:91], v[54:55], v[124:125]
	v_mul_f64 v[116:117], v[122:123], s[26:27]
	v_mul_f64 v[124:125], v[58:59], s[28:29]
	v_fma_f64 v[132:133], v[56:57], s[16:17], v[128:129]
	v_add_f64 v[62:63], v[52:53], v[62:63]
	v_add_f64 v[92:93], v[54:55], v[92:93]
	;; [unrolled: 1-line block ×12, first 2 shown]
	v_fma_f64 v[130:131], v[126:127], s[4:5], v[68:69]
	v_add_f64 v[52:53], v[52:53], v[60:61]
	v_add_f64 v[54:55], v[54:55], v[64:65]
	v_fma_f64 v[60:61], v[126:127], s[4:5], -v[68:69]
	v_fma_f64 v[64:65], v[56:57], s[2:3], v[128:129]
	v_fma_f64 v[68:69], v[126:127], s[28:29], v[116:117]
	;; [unrolled: 1-line block ×3, first 2 shown]
	v_add_f64 v[104:105], v[132:133], v[104:105]
	v_mul_f64 v[132:133], v[58:59], s[36:37]
	v_add_f64 v[98:99], v[130:131], v[98:99]
	v_mul_f64 v[130:131], v[122:123], s[38:39]
	v_add_f64 v[60:61], v[60:61], v[62:63]
	v_add_f64 v[62:63], v[64:65], v[92:93]
	;; [unrolled: 1-line block ×4, first 2 shown]
	v_fma_f64 v[92:93], v[126:127], s[28:29], -v[116:117]
	v_fma_f64 v[94:95], v[56:57], s[26:27], v[124:125]
	v_fma_f64 v[116:117], v[56:57], s[34:35], v[132:133]
	v_mul_f64 v[124:125], v[122:123], s[24:25]
	v_mul_f64 v[128:129], v[58:59], s[22:23]
	v_fma_f64 v[96:97], v[126:127], s[36:37], v[130:131]
	v_mul_f64 v[122:123], v[122:123], s[20:21]
	v_mul_f64 v[58:59], v[58:59], s[6:7]
	v_add_f64 v[92:93], v[92:93], v[100:101]
	v_add_f64 v[94:95], v[94:95], v[102:103]
	;; [unrolled: 1-line block ×3, first 2 shown]
	v_fma_f64 v[102:103], v[126:127], s[22:23], v[124:125]
	v_fma_f64 v[112:113], v[126:127], s[22:23], -v[124:125]
	v_fma_f64 v[116:117], v[56:57], s[24:25], v[128:129]
	v_add_f64 v[96:97], v[96:97], v[110:111]
	v_fma_f64 v[110:111], v[56:57], s[18:19], v[128:129]
	v_fma_f64 v[132:133], v[56:57], s[38:39], v[132:133]
	v_fma_f64 v[130:131], v[126:127], s[36:37], -v[130:131]
	v_mad_u64_u32 v[40:41], s[40:41], s10, v196, 0
	v_add_f64 v[102:103], v[102:103], v[118:119]
	v_add_f64 v[118:119], v[76:77], -v[46:47]
	v_add_f64 v[46:47], v[76:77], v[46:47]
	v_add_f64 v[70:71], v[112:113], v[70:71]
	;; [unrolled: 1-line block ×3, first 2 shown]
	v_fma_f64 v[112:113], v[126:127], s[6:7], v[122:123]
	v_fma_f64 v[114:115], v[56:57], s[14:15], v[58:59]
	v_add_f64 v[110:111], v[110:111], v[120:121]
	v_add_f64 v[116:117], v[74:75], v[88:89]
	v_add_f64 v[74:75], v[74:75], -v[88:89]
	v_mul_f64 v[88:89], v[118:119], s[18:19]
	v_mul_f64 v[120:121], v[46:47], s[22:23]
	v_fma_f64 v[56:57], v[56:57], s[20:21], v[58:59]
	v_add_f64 v[58:59], v[112:113], v[66:67]
	v_add_f64 v[66:67], v[114:115], v[90:91]
	v_mul_f64 v[90:91], v[118:119], s[38:39]
	v_fma_f64 v[122:123], v[126:127], s[6:7], -v[122:123]
	v_mul_f64 v[112:113], v[46:47], s[36:37]
	v_fma_f64 v[114:115], v[116:117], s[22:23], v[88:89]
	v_fma_f64 v[124:125], v[74:75], s[24:25], v[120:121]
	v_add_f64 v[54:55], v[56:57], v[54:55]
	v_fma_f64 v[56:57], v[116:117], s[22:23], -v[88:89]
	v_fma_f64 v[88:89], v[74:75], s[18:19], v[120:121]
	v_fma_f64 v[120:121], v[116:117], s[36:37], v[90:91]
	v_add_f64 v[52:53], v[122:123], v[52:53]
	v_fma_f64 v[122:123], v[74:75], s[34:35], v[112:113]
	v_add_f64 v[98:99], v[114:115], v[98:99]
	v_add_f64 v[104:105], v[124:125], v[104:105]
	v_mul_f64 v[114:115], v[118:119], s[16:17]
	v_mul_f64 v[124:125], v[46:47], s[4:5]
	v_add_f64 v[56:57], v[56:57], v[60:61]
	v_add_f64 v[60:61], v[88:89], v[62:63]
	;; [unrolled: 1-line block ×3, first 2 shown]
	v_fma_f64 v[88:89], v[74:75], s[38:39], v[112:113]
	v_mul_f64 v[120:121], v[118:119], s[14:15]
	v_add_f64 v[64:65], v[122:123], v[68:69]
	v_fma_f64 v[68:69], v[116:117], s[36:37], -v[90:91]
	v_fma_f64 v[90:91], v[116:117], s[4:5], v[114:115]
	v_fma_f64 v[112:113], v[74:75], s[2:3], v[124:125]
	v_mul_f64 v[122:123], v[46:47], s[6:7]
	v_add_f64 v[106:107], v[130:131], v[106:107]
	v_add_f64 v[88:89], v[88:89], v[94:95]
	v_fma_f64 v[94:95], v[116:117], s[6:7], v[120:121]
	v_add_f64 v[108:109], v[132:133], v[108:109]
	v_fma_f64 v[114:115], v[116:117], s[4:5], -v[114:115]
	v_fma_f64 v[124:125], v[74:75], s[16:17], v[124:125]
	v_add_f64 v[68:69], v[68:69], v[92:93]
	v_add_f64 v[90:91], v[90:91], v[96:97]
	v_add_f64 v[92:93], v[112:113], v[100:101]
	v_fma_f64 v[96:97], v[74:75], s[20:21], v[122:123]
	v_mul_f64 v[46:47], v[46:47], s[28:29]
	v_fma_f64 v[112:113], v[116:117], s[6:7], -v[120:121]
	v_add_f64 v[94:95], v[94:95], v[102:103]
	v_add_f64 v[102:103], v[78:79], -v[50:51]
	v_add_f64 v[100:101], v[114:115], v[106:107]
	v_add_f64 v[106:107], v[124:125], v[108:109]
	v_mul_f64 v[108:109], v[118:119], s[26:27]
	v_fma_f64 v[114:115], v[74:75], s[14:15], v[122:123]
	v_add_f64 v[96:97], v[96:97], v[110:111]
	v_add_f64 v[50:51], v[78:79], v[50:51]
	v_fma_f64 v[110:111], v[74:75], s[30:31], v[46:47]
	v_add_f64 v[70:71], v[112:113], v[70:71]
	v_add_f64 v[112:113], v[72:73], v[48:49]
	v_add_f64 v[48:49], v[72:73], -v[48:49]
	v_mul_f64 v[72:73], v[102:103], s[26:27]
	v_fma_f64 v[78:79], v[116:117], s[28:29], v[108:109]
	v_add_f64 v[76:77], v[114:115], v[76:77]
	v_mul_f64 v[114:115], v[50:51], s[28:29]
	v_add_f64 v[66:67], v[110:111], v[66:67]
	v_fma_f64 v[46:47], v[74:75], s[26:27], v[46:47]
	v_mul_f64 v[74:75], v[102:103], s[24:25]
	v_fma_f64 v[110:111], v[112:113], s[28:29], v[72:73]
	v_fma_f64 v[72:73], v[112:113], s[28:29], -v[72:73]
	v_add_f64 v[58:59], v[78:79], v[58:59]
	v_fma_f64 v[78:79], v[116:117], s[28:29], -v[108:109]
	v_mul_f64 v[108:109], v[50:51], s[22:23]
	v_fma_f64 v[116:117], v[48:49], s[30:31], v[114:115]
	v_fma_f64 v[114:115], v[48:49], s[26:27], v[114:115]
	v_add_f64 v[46:47], v[46:47], v[54:55]
	v_fma_f64 v[54:55], v[112:113], s[22:23], v[74:75]
	v_add_f64 v[56:57], v[72:73], v[56:57]
	v_mul_f64 v[72:73], v[102:103], s[14:15]
	v_add_f64 v[52:53], v[78:79], v[52:53]
	v_fma_f64 v[78:79], v[48:49], s[18:19], v[108:109]
	v_add_f64 v[98:99], v[110:111], v[98:99]
	v_add_f64 v[60:61], v[114:115], v[60:61]
	v_mul_f64 v[110:111], v[50:51], s[6:7]
	v_add_f64 v[104:105], v[116:117], v[104:105]
	v_add_f64 v[54:55], v[54:55], v[62:63]
	v_fma_f64 v[114:115], v[112:113], s[6:7], v[72:73]
	v_fma_f64 v[72:73], v[112:113], s[6:7], -v[72:73]
	v_add_f64 v[62:63], v[78:79], v[64:65]
	v_mul_f64 v[64:65], v[102:103], s[34:35]
	v_mul_f64 v[78:79], v[50:51], s[36:37]
	v_fma_f64 v[74:75], v[112:113], s[22:23], -v[74:75]
	v_fma_f64 v[108:109], v[48:49], s[24:25], v[108:109]
	v_fma_f64 v[116:117], v[48:49], s[20:21], v[110:111]
	;; [unrolled: 1-line block ×3, first 2 shown]
	v_add_f64 v[72:73], v[72:73], v[100:101]
	v_add_f64 v[100:101], v[82:83], -v[86:87]
	v_add_f64 v[82:83], v[82:83], v[86:87]
	v_mul_f64 v[50:51], v[50:51], s[4:5]
	v_mul_f64 v[86:87], v[102:103], s[16:17]
	v_fma_f64 v[118:119], v[112:113], s[36:37], v[64:65]
	v_add_f64 v[68:69], v[74:75], v[68:69]
	v_add_f64 v[74:75], v[108:109], v[88:89]
	;; [unrolled: 1-line block ×5, first 2 shown]
	v_fma_f64 v[64:65], v[112:113], s[36:37], -v[64:65]
	v_add_f64 v[102:103], v[80:81], v[84:85]
	v_add_f64 v[80:81], v[80:81], -v[84:85]
	v_mul_f64 v[84:85], v[100:101], s[34:35]
	v_mul_f64 v[106:107], v[82:83], s[36:37]
	v_fma_f64 v[110:111], v[48:49], s[2:3], v[50:51]
	v_fma_f64 v[120:121], v[48:49], s[38:39], v[78:79]
	;; [unrolled: 1-line block ×4, first 2 shown]
	v_add_f64 v[114:115], v[64:65], v[70:71]
	v_fma_f64 v[64:65], v[112:113], s[4:5], -v[86:87]
	v_fma_f64 v[48:49], v[48:49], s[16:17], v[50:51]
	v_fma_f64 v[50:51], v[102:103], s[36:37], v[84:85]
	;; [unrolled: 1-line block ×3, first 2 shown]
	v_add_f64 v[86:87], v[110:111], v[66:67]
	v_mul_f64 v[66:67], v[82:83], s[6:7]
	v_add_f64 v[76:77], v[78:79], v[76:77]
	v_add_f64 v[78:79], v[108:109], v[58:59]
	v_mul_f64 v[58:59], v[100:101], s[20:21]
	v_add_f64 v[108:109], v[64:65], v[52:53]
	v_add_f64 v[110:111], v[48:49], v[46:47]
	;; [unrolled: 1-line block ×4, first 2 shown]
	v_fma_f64 v[50:51], v[102:103], s[36:37], -v[84:85]
	v_fma_f64 v[52:53], v[80:81], s[34:35], v[106:107]
	v_fma_f64 v[70:71], v[80:81], s[14:15], v[66:67]
	v_mul_f64 v[84:85], v[100:101], s[26:27]
	v_fma_f64 v[66:67], v[80:81], s[20:21], v[66:67]
	v_fma_f64 v[64:65], v[102:103], s[6:7], v[58:59]
	v_fma_f64 v[58:59], v[102:103], s[6:7], -v[58:59]
	v_mul_f64 v[98:99], v[82:83], s[28:29]
	v_add_f64 v[50:51], v[50:51], v[56:57]
	v_add_f64 v[52:53], v[52:53], v[60:61]
	;; [unrolled: 1-line block ×3, first 2 shown]
	v_fma_f64 v[62:63], v[102:103], s[28:29], v[84:85]
	v_add_f64 v[60:61], v[66:67], v[74:75]
	v_fma_f64 v[66:67], v[102:103], s[28:29], -v[84:85]
	v_mul_f64 v[70:71], v[100:101], s[16:17]
	v_mul_f64 v[74:75], v[82:83], s[4:5]
	v_add_f64 v[58:59], v[58:59], v[68:69]
	v_fma_f64 v[68:69], v[80:81], s[26:27], v[98:99]
	v_mul_f64 v[84:85], v[100:101], s[18:19]
	v_mul_f64 v[82:83], v[82:83], s[22:23]
	v_add_f64 v[54:55], v[64:65], v[54:55]
	v_fma_f64 v[64:65], v[80:81], s[30:31], v[98:99]
	v_add_f64 v[94:95], v[118:119], v[94:95]
	v_add_f64 v[96:97], v[120:121], v[96:97]
	;; [unrolled: 1-line block ×4, first 2 shown]
	v_fma_f64 v[72:73], v[102:103], s[4:5], v[70:71]
	v_fma_f64 v[88:89], v[80:81], s[2:3], v[74:75]
	v_add_f64 v[68:69], v[68:69], v[92:93]
	v_fma_f64 v[92:93], v[102:103], s[22:23], v[84:85]
	v_fma_f64 v[98:99], v[80:81], s[24:25], v[82:83]
	v_fma_f64 v[84:85], v[102:103], s[22:23], -v[84:85]
	v_fma_f64 v[100:101], v[80:81], s[18:19], v[82:83]
	v_add_f64 v[64:65], v[64:65], v[90:91]
	v_fma_f64 v[90:91], v[102:103], s[4:5], -v[70:71]
	v_fma_f64 v[102:103], v[80:81], s[16:17], v[74:75]
	v_add_f64 v[70:71], v[72:73], v[94:95]
	v_add_f64 v[72:73], v[88:89], v[96:97]
	;; [unrolled: 1-line block ×8, first 2 shown]
	ds_write_b128 v197, v[42:45]
	ds_write_b128 v197, v[46:49] offset:1760
	ds_write_b128 v197, v[54:57] offset:3520
	;; [unrolled: 1-line block ×10, first 2 shown]
	s_waitcnt lgkmcnt(0)
	s_barrier
	ds_read_b128 v[42:45], v197
	ds_read_b128 v[46:49], v197 offset:1760
	v_mad_u64_u32 v[54:55], s[2:3], s8, v200, 0
	v_mov_b32_e32 v58, s13
	s_waitcnt lgkmcnt(1)
	v_mul_f64 v[50:51], v[38:39], v[44:45]
	v_mul_f64 v[38:39], v[38:39], v[42:43]
	v_mad_u64_u32 v[52:53], s[2:3], s11, v196, v[41:42]
	s_mov_b32 s2, 0xdfd760e6
	s_mov_b32 s3, 0x3f4b14bb
	v_mov_b32_e32 v41, v52
	v_lshlrev_b64 v[40:41], 4, v[40:41]
	v_fma_f64 v[42:43], v[36:37], v[42:43], v[50:51]
	v_fma_f64 v[44:45], v[36:37], v[44:45], -v[38:39]
	v_mov_b32_e32 v36, v55
	v_mad_u64_u32 v[50:51], s[4:5], s9, v200, v[36:37]
	ds_read_b128 v[36:39], v197 offset:9680
	v_add_co_u32_e32 v59, vcc, s12, v40
	v_mov_b32_e32 v55, v50
	ds_read_b128 v[50:53], v197 offset:7040
	s_waitcnt lgkmcnt(1)
	v_mul_f64 v[56:57], v[14:15], v[38:39]
	v_mul_f64 v[14:15], v[14:15], v[36:37]
	;; [unrolled: 1-line block ×4, first 2 shown]
	v_addc_co_u32_e32 v58, vcc, v58, v41, vcc
	v_lshlrev_b64 v[40:41], 4, v[54:55]
	s_mul_i32 s4, s9, 0x25d
	v_fma_f64 v[36:37], v[12:13], v[36:37], v[56:57]
	v_fma_f64 v[14:15], v[12:13], v[38:39], -v[14:15]
	s_mul_hi_u32 s5, s8, 0x25d
	v_add_co_u32_e32 v38, vcc, v59, v40
	s_add_i32 s5, s5, s4
	s_mul_i32 s4, s8, 0x25d
	v_addc_co_u32_e32 v39, vcc, v58, v41, vcc
	v_mul_f64 v[12:13], v[36:37], s[2:3]
	v_mul_f64 v[36:37], v[2:3], v[48:49]
	v_mul_f64 v[14:15], v[14:15], s[2:3]
	v_mul_f64 v[2:3], v[2:3], v[46:47]
	s_lshl_b64 s[4:5], s[4:5], 4
	global_store_dwordx4 v[38:39], v[42:45], off
	v_mov_b32_e32 v54, s5
	v_add_co_u32_e32 v44, vcc, s4, v38
	v_fma_f64 v[36:37], v[0:1], v[46:47], v[36:37]
	v_addc_co_u32_e32 v45, vcc, v39, v54, vcc
	global_store_dwordx4 v[44:45], v[12:15], off
	ds_read_b128 v[12:15], v197 offset:11440
	v_fma_f64 v[2:3], v[0:1], v[48:49], -v[2:3]
	ds_read_b128 v[40:43], v197 offset:3520
	s_mul_hi_u32 s7, s8, 0xfffffe11
	v_mul_f64 v[0:1], v[36:37], s[2:3]
	ds_read_b128 v[36:39], v197 offset:13200
	s_waitcnt lgkmcnt(2)
	v_mul_f64 v[46:47], v[6:7], v[14:15]
	v_mul_f64 v[6:7], v[6:7], v[12:13]
	s_mul_i32 s6, s9, 0xfffffe11
	v_mul_f64 v[2:3], v[2:3], s[2:3]
	s_sub_i32 s7, s7, s8
	s_add_i32 s7, s7, s6
	s_mul_i32 s6, s8, 0xfffffe11
	s_lshl_b64 s[6:7], s[6:7], 4
	v_fma_f64 v[12:13], v[4:5], v[12:13], v[46:47]
	v_fma_f64 v[14:15], v[4:5], v[14:15], -v[6:7]
	ds_read_b128 v[4:7], v197 offset:5280
	s_waitcnt lgkmcnt(2)
	v_mul_f64 v[46:47], v[10:11], v[42:43]
	v_mul_f64 v[10:11], v[10:11], v[40:41]
	v_mov_b32_e32 v48, s7
	v_add_co_u32_e32 v44, vcc, s6, v44
	v_addc_co_u32_e32 v45, vcc, v45, v48, vcc
	global_store_dwordx4 v[44:45], v[0:3], off
	s_nop 0
	v_mul_f64 v[0:1], v[12:13], s[2:3]
	v_mul_f64 v[2:3], v[14:15], s[2:3]
	v_fma_f64 v[12:13], v[8:9], v[40:41], v[46:47]
	v_fma_f64 v[8:9], v[8:9], v[42:43], -v[10:11]
	s_waitcnt lgkmcnt(1)
	v_mul_f64 v[10:11], v[30:31], v[38:39]
	v_mul_f64 v[14:15], v[30:31], v[36:37]
	v_add_co_u32_e32 v30, vcc, s4, v44
	v_addc_co_u32_e32 v31, vcc, v45, v54, vcc
	global_store_dwordx4 v[30:31], v[0:3], off
	v_add_co_u32_e32 v30, vcc, s6, v30
	v_mul_f64 v[0:1], v[12:13], s[2:3]
	v_mul_f64 v[2:3], v[8:9], s[2:3]
	v_fma_f64 v[8:9], v[28:29], v[36:37], v[10:11]
	v_fma_f64 v[12:13], v[28:29], v[38:39], -v[14:15]
	s_waitcnt lgkmcnt(0)
	v_mul_f64 v[14:15], v[34:35], v[6:7]
	v_mul_f64 v[28:29], v[34:35], v[4:5]
	v_addc_co_u32_e32 v31, vcc, v31, v48, vcc
	global_store_dwordx4 v[30:31], v[0:3], off
	s_nop 0
	v_mul_f64 v[0:1], v[8:9], s[2:3]
	ds_read_b128 v[8:11], v197 offset:14960
	v_mul_f64 v[2:3], v[12:13], s[2:3]
	v_fma_f64 v[12:13], v[32:33], v[4:5], v[14:15]
	v_fma_f64 v[14:15], v[32:33], v[6:7], -v[28:29]
	ds_read_b128 v[4:7], v197 offset:16720
	s_waitcnt lgkmcnt(1)
	v_mul_f64 v[28:29], v[18:19], v[10:11]
	v_mul_f64 v[18:19], v[18:19], v[8:9]
	v_add_co_u32_e32 v30, vcc, s4, v30
	v_addc_co_u32_e32 v31, vcc, v31, v54, vcc
	global_store_dwordx4 v[30:31], v[0:3], off
	v_fma_f64 v[8:9], v[16:17], v[8:9], v[28:29]
	v_mul_f64 v[0:1], v[12:13], s[2:3]
	v_mul_f64 v[2:3], v[14:15], s[2:3]
	v_fma_f64 v[10:11], v[16:17], v[10:11], -v[18:19]
	v_mul_f64 v[12:13], v[22:23], v[52:53]
	v_mul_f64 v[14:15], v[22:23], v[50:51]
	s_waitcnt lgkmcnt(0)
	v_mul_f64 v[16:17], v[26:27], v[6:7]
	v_mul_f64 v[18:19], v[26:27], v[4:5]
	v_add_co_u32_e32 v22, vcc, s6, v30
	v_addc_co_u32_e32 v23, vcc, v31, v48, vcc
	global_store_dwordx4 v[22:23], v[0:3], off
	s_nop 0
	v_mul_f64 v[0:1], v[8:9], s[2:3]
	v_mul_f64 v[2:3], v[10:11], s[2:3]
	v_fma_f64 v[8:9], v[20:21], v[50:51], v[12:13]
	v_fma_f64 v[10:11], v[20:21], v[52:53], -v[14:15]
	v_fma_f64 v[12:13], v[24:25], v[4:5], v[16:17]
	v_fma_f64 v[14:15], v[24:25], v[6:7], -v[18:19]
	v_add_co_u32_e32 v16, vcc, s4, v22
	v_addc_co_u32_e32 v17, vcc, v23, v54, vcc
	v_mul_f64 v[4:5], v[8:9], s[2:3]
	v_mul_f64 v[6:7], v[10:11], s[2:3]
	;; [unrolled: 1-line block ×4, first 2 shown]
	global_store_dwordx4 v[16:17], v[0:3], off
	s_nop 0
	v_add_co_u32_e32 v0, vcc, s6, v16
	v_addc_co_u32_e32 v1, vcc, v17, v48, vcc
	global_store_dwordx4 v[0:1], v[4:7], off
	v_add_co_u32_e32 v0, vcc, s4, v0
	v_addc_co_u32_e32 v1, vcc, v1, v54, vcc
	global_store_dwordx4 v[0:1], v[8:11], off
	s_and_b64 exec, exec, s[0:1]
	s_cbranch_execz .LBB0_23
; %bb.22:
	v_add_co_u32_e32 v2, vcc, 0x2000, v198
	v_addc_co_u32_e32 v3, vcc, 0, v199, vcc
	s_movk_i32 s0, 0x4000
	v_add_co_u32_e32 v6, vcc, s0, v198
	global_load_dwordx4 v[2:5], v[2:3], off offset:608
	v_addc_co_u32_e32 v7, vcc, 0, v199, vcc
	global_load_dwordx4 v[6:9], v[6:7], off offset:2096
	ds_read_b128 v[10:13], v197 offset:8800
	ds_read_b128 v[14:17], v197 offset:18480
	v_add_co_u32_e32 v0, vcc, s6, v0
	s_waitcnt vmcnt(1) lgkmcnt(1)
	v_mul_f64 v[18:19], v[12:13], v[4:5]
	v_mul_f64 v[4:5], v[10:11], v[4:5]
	s_waitcnt vmcnt(0) lgkmcnt(0)
	v_mul_f64 v[20:21], v[16:17], v[8:9]
	v_mul_f64 v[8:9], v[14:15], v[8:9]
	v_fma_f64 v[10:11], v[10:11], v[2:3], v[18:19]
	v_fma_f64 v[4:5], v[2:3], v[12:13], -v[4:5]
	v_fma_f64 v[12:13], v[14:15], v[6:7], v[20:21]
	v_fma_f64 v[8:9], v[6:7], v[16:17], -v[8:9]
	v_mov_b32_e32 v14, s7
	v_addc_co_u32_e32 v1, vcc, v1, v14, vcc
	v_mul_f64 v[2:3], v[10:11], s[2:3]
	v_mul_f64 v[4:5], v[4:5], s[2:3]
	v_mov_b32_e32 v15, s5
	v_mul_f64 v[6:7], v[12:13], s[2:3]
	v_mul_f64 v[8:9], v[8:9], s[2:3]
	v_add_co_u32_e32 v10, vcc, s4, v0
	v_addc_co_u32_e32 v11, vcc, v1, v15, vcc
	global_store_dwordx4 v[0:1], v[2:5], off
	global_store_dwordx4 v[10:11], v[6:9], off
.LBB0_23:
	s_endpgm
	.section	.rodata,"a",@progbits
	.p2align	6, 0x0
	.amdhsa_kernel bluestein_single_back_len1210_dim1_dp_op_CI_CI
		.amdhsa_group_segment_fixed_size 19360
		.amdhsa_private_segment_fixed_size 0
		.amdhsa_kernarg_size 104
		.amdhsa_user_sgpr_count 6
		.amdhsa_user_sgpr_private_segment_buffer 1
		.amdhsa_user_sgpr_dispatch_ptr 0
		.amdhsa_user_sgpr_queue_ptr 0
		.amdhsa_user_sgpr_kernarg_segment_ptr 1
		.amdhsa_user_sgpr_dispatch_id 0
		.amdhsa_user_sgpr_flat_scratch_init 0
		.amdhsa_user_sgpr_private_segment_size 0
		.amdhsa_uses_dynamic_stack 0
		.amdhsa_system_sgpr_private_segment_wavefront_offset 0
		.amdhsa_system_sgpr_workgroup_id_x 1
		.amdhsa_system_sgpr_workgroup_id_y 0
		.amdhsa_system_sgpr_workgroup_id_z 0
		.amdhsa_system_sgpr_workgroup_info 0
		.amdhsa_system_vgpr_workitem_id 0
		.amdhsa_next_free_vgpr 253
		.amdhsa_next_free_sgpr 42
		.amdhsa_reserve_vcc 1
		.amdhsa_reserve_flat_scratch 0
		.amdhsa_float_round_mode_32 0
		.amdhsa_float_round_mode_16_64 0
		.amdhsa_float_denorm_mode_32 3
		.amdhsa_float_denorm_mode_16_64 3
		.amdhsa_dx10_clamp 1
		.amdhsa_ieee_mode 1
		.amdhsa_fp16_overflow 0
		.amdhsa_exception_fp_ieee_invalid_op 0
		.amdhsa_exception_fp_denorm_src 0
		.amdhsa_exception_fp_ieee_div_zero 0
		.amdhsa_exception_fp_ieee_overflow 0
		.amdhsa_exception_fp_ieee_underflow 0
		.amdhsa_exception_fp_ieee_inexact 0
		.amdhsa_exception_int_div_zero 0
	.end_amdhsa_kernel
	.text
.Lfunc_end0:
	.size	bluestein_single_back_len1210_dim1_dp_op_CI_CI, .Lfunc_end0-bluestein_single_back_len1210_dim1_dp_op_CI_CI
                                        ; -- End function
	.section	.AMDGPU.csdata,"",@progbits
; Kernel info:
; codeLenInByte = 20496
; NumSgprs: 46
; NumVgprs: 253
; ScratchSize: 0
; MemoryBound: 0
; FloatMode: 240
; IeeeMode: 1
; LDSByteSize: 19360 bytes/workgroup (compile time only)
; SGPRBlocks: 5
; VGPRBlocks: 63
; NumSGPRsForWavesPerEU: 46
; NumVGPRsForWavesPerEU: 253
; Occupancy: 1
; WaveLimiterHint : 1
; COMPUTE_PGM_RSRC2:SCRATCH_EN: 0
; COMPUTE_PGM_RSRC2:USER_SGPR: 6
; COMPUTE_PGM_RSRC2:TRAP_HANDLER: 0
; COMPUTE_PGM_RSRC2:TGID_X_EN: 1
; COMPUTE_PGM_RSRC2:TGID_Y_EN: 0
; COMPUTE_PGM_RSRC2:TGID_Z_EN: 0
; COMPUTE_PGM_RSRC2:TIDIG_COMP_CNT: 0
	.type	__hip_cuid_4b17a6b407a9ca66,@object ; @__hip_cuid_4b17a6b407a9ca66
	.section	.bss,"aw",@nobits
	.globl	__hip_cuid_4b17a6b407a9ca66
__hip_cuid_4b17a6b407a9ca66:
	.byte	0                               ; 0x0
	.size	__hip_cuid_4b17a6b407a9ca66, 1

	.ident	"AMD clang version 19.0.0git (https://github.com/RadeonOpenCompute/llvm-project roc-6.4.0 25133 c7fe45cf4b819c5991fe208aaa96edf142730f1d)"
	.section	".note.GNU-stack","",@progbits
	.addrsig
	.addrsig_sym __hip_cuid_4b17a6b407a9ca66
	.amdgpu_metadata
---
amdhsa.kernels:
  - .args:
      - .actual_access:  read_only
        .address_space:  global
        .offset:         0
        .size:           8
        .value_kind:     global_buffer
      - .actual_access:  read_only
        .address_space:  global
        .offset:         8
        .size:           8
        .value_kind:     global_buffer
      - .actual_access:  read_only
        .address_space:  global
        .offset:         16
        .size:           8
        .value_kind:     global_buffer
      - .actual_access:  read_only
        .address_space:  global
        .offset:         24
        .size:           8
        .value_kind:     global_buffer
      - .actual_access:  read_only
        .address_space:  global
        .offset:         32
        .size:           8
        .value_kind:     global_buffer
      - .offset:         40
        .size:           8
        .value_kind:     by_value
      - .address_space:  global
        .offset:         48
        .size:           8
        .value_kind:     global_buffer
      - .address_space:  global
        .offset:         56
        .size:           8
        .value_kind:     global_buffer
      - .address_space:  global
        .offset:         64
        .size:           8
        .value_kind:     global_buffer
      - .address_space:  global
        .offset:         72
        .size:           8
        .value_kind:     global_buffer
      - .offset:         80
        .size:           4
        .value_kind:     by_value
      - .address_space:  global
        .offset:         88
        .size:           8
        .value_kind:     global_buffer
      - .address_space:  global
        .offset:         96
        .size:           8
        .value_kind:     global_buffer
    .group_segment_fixed_size: 19360
    .kernarg_segment_align: 8
    .kernarg_segment_size: 104
    .language:       OpenCL C
    .language_version:
      - 2
      - 0
    .max_flat_workgroup_size: 110
    .name:           bluestein_single_back_len1210_dim1_dp_op_CI_CI
    .private_segment_fixed_size: 0
    .sgpr_count:     46
    .sgpr_spill_count: 0
    .symbol:         bluestein_single_back_len1210_dim1_dp_op_CI_CI.kd
    .uniform_work_group_size: 1
    .uses_dynamic_stack: false
    .vgpr_count:     253
    .vgpr_spill_count: 0
    .wavefront_size: 64
amdhsa.target:   amdgcn-amd-amdhsa--gfx906
amdhsa.version:
  - 1
  - 2
...

	.end_amdgpu_metadata
